;; amdgpu-corpus repo=ROCm/rocFFT kind=compiled arch=gfx1201 opt=O3
	.text
	.amdgcn_target "amdgcn-amd-amdhsa--gfx1201"
	.amdhsa_code_object_version 6
	.protected	fft_rtc_fwd_len3375_factors_5_5_5_3_3_3_wgs_225_tpt_225_halfLds_sp_op_CI_CI_sbrr_dirReg ; -- Begin function fft_rtc_fwd_len3375_factors_5_5_5_3_3_3_wgs_225_tpt_225_halfLds_sp_op_CI_CI_sbrr_dirReg
	.globl	fft_rtc_fwd_len3375_factors_5_5_5_3_3_3_wgs_225_tpt_225_halfLds_sp_op_CI_CI_sbrr_dirReg
	.p2align	8
	.type	fft_rtc_fwd_len3375_factors_5_5_5_3_3_3_wgs_225_tpt_225_halfLds_sp_op_CI_CI_sbrr_dirReg,@function
fft_rtc_fwd_len3375_factors_5_5_5_3_3_3_wgs_225_tpt_225_halfLds_sp_op_CI_CI_sbrr_dirReg: ; @fft_rtc_fwd_len3375_factors_5_5_5_3_3_3_wgs_225_tpt_225_halfLds_sp_op_CI_CI_sbrr_dirReg
; %bb.0:
	s_clause 0x2
	s_load_b128 s[12:15], s[0:1], 0x18
	s_load_b128 s[8:11], s[0:1], 0x0
	;; [unrolled: 1-line block ×3, first 2 shown]
	v_mul_u32_u24_e32 v1, 0x124, v0
	v_mov_b32_e32 v18, 0
	v_mov_b32_e32 v19, 0
	s_wait_kmcnt 0x0
	s_load_b64 s[18:19], s[12:13], 0x0
	s_load_b64 s[16:17], s[14:15], 0x0
	v_lshrrev_b32_e32 v2, 16, v1
	v_mov_b32_e32 v1, 0
	v_cmp_lt_u64_e64 s2, s[10:11], 2
	s_delay_alu instid0(VALU_DEP_2) | instskip(NEXT) | instid1(VALU_DEP_2)
	v_dual_mov_b32 v9, v1 :: v_dual_add_nc_u32 v8, ttmp9, v2
	s_and_b32 vcc_lo, exec_lo, s2
	s_cbranch_vccnz .LBB0_8
; %bb.1:
	s_load_b64 s[2:3], s[0:1], 0x10
	v_mov_b32_e32 v18, 0
	v_mov_b32_e32 v19, 0
	s_delay_alu instid0(VALU_DEP_2)
	v_mov_b32_e32 v4, v18
	s_add_nc_u64 s[20:21], s[14:15], 8
	s_add_nc_u64 s[22:23], s[12:13], 8
	s_mov_b64 s[24:25], 1
	v_mov_b32_e32 v5, v19
	s_wait_kmcnt 0x0
	s_add_nc_u64 s[26:27], s[2:3], 8
	s_mov_b32 s3, 0
.LBB0_2:                                ; =>This Inner Loop Header: Depth=1
	s_load_b64 s[28:29], s[26:27], 0x0
                                        ; implicit-def: $vgpr6_vgpr7
	s_mov_b32 s2, exec_lo
	s_wait_kmcnt 0x0
	v_or_b32_e32 v2, s29, v9
	s_delay_alu instid0(VALU_DEP_1)
	v_cmpx_ne_u64_e32 0, v[1:2]
	s_wait_alu 0xfffe
	s_xor_b32 s30, exec_lo, s2
	s_cbranch_execz .LBB0_4
; %bb.3:                                ;   in Loop: Header=BB0_2 Depth=1
	s_cvt_f32_u32 s2, s28
	s_cvt_f32_u32 s31, s29
	s_sub_nc_u64 s[36:37], 0, s[28:29]
	s_wait_alu 0xfffe
	s_delay_alu instid0(SALU_CYCLE_1) | instskip(SKIP_1) | instid1(SALU_CYCLE_2)
	s_fmamk_f32 s2, s31, 0x4f800000, s2
	s_wait_alu 0xfffe
	v_s_rcp_f32 s2, s2
	s_delay_alu instid0(TRANS32_DEP_1) | instskip(SKIP_1) | instid1(SALU_CYCLE_2)
	s_mul_f32 s2, s2, 0x5f7ffffc
	s_wait_alu 0xfffe
	s_mul_f32 s31, s2, 0x2f800000
	s_wait_alu 0xfffe
	s_delay_alu instid0(SALU_CYCLE_2) | instskip(SKIP_1) | instid1(SALU_CYCLE_2)
	s_trunc_f32 s31, s31
	s_wait_alu 0xfffe
	s_fmamk_f32 s2, s31, 0xcf800000, s2
	s_cvt_u32_f32 s35, s31
	s_wait_alu 0xfffe
	s_delay_alu instid0(SALU_CYCLE_1) | instskip(SKIP_1) | instid1(SALU_CYCLE_2)
	s_cvt_u32_f32 s34, s2
	s_wait_alu 0xfffe
	s_mul_u64 s[38:39], s[36:37], s[34:35]
	s_wait_alu 0xfffe
	s_mul_hi_u32 s41, s34, s39
	s_mul_i32 s40, s34, s39
	s_mul_hi_u32 s2, s34, s38
	s_mul_i32 s33, s35, s38
	s_wait_alu 0xfffe
	s_add_nc_u64 s[40:41], s[2:3], s[40:41]
	s_mul_hi_u32 s31, s35, s38
	s_mul_hi_u32 s42, s35, s39
	s_add_co_u32 s2, s40, s33
	s_wait_alu 0xfffe
	s_add_co_ci_u32 s2, s41, s31
	s_mul_i32 s38, s35, s39
	s_add_co_ci_u32 s39, s42, 0
	s_wait_alu 0xfffe
	s_add_nc_u64 s[38:39], s[2:3], s[38:39]
	s_wait_alu 0xfffe
	v_add_co_u32 v2, s2, s34, s38
	s_delay_alu instid0(VALU_DEP_1) | instskip(SKIP_1) | instid1(VALU_DEP_1)
	s_cmp_lg_u32 s2, 0
	s_add_co_ci_u32 s35, s35, s39
	v_readfirstlane_b32 s34, v2
	s_wait_alu 0xfffe
	s_delay_alu instid0(VALU_DEP_1)
	s_mul_u64 s[36:37], s[36:37], s[34:35]
	s_wait_alu 0xfffe
	s_mul_hi_u32 s39, s34, s37
	s_mul_i32 s38, s34, s37
	s_mul_hi_u32 s2, s34, s36
	s_mul_i32 s33, s35, s36
	s_wait_alu 0xfffe
	s_add_nc_u64 s[38:39], s[2:3], s[38:39]
	s_mul_hi_u32 s31, s35, s36
	s_mul_hi_u32 s34, s35, s37
	s_wait_alu 0xfffe
	s_add_co_u32 s2, s38, s33
	s_add_co_ci_u32 s2, s39, s31
	s_mul_i32 s36, s35, s37
	s_add_co_ci_u32 s37, s34, 0
	s_wait_alu 0xfffe
	s_add_nc_u64 s[36:37], s[2:3], s[36:37]
	s_wait_alu 0xfffe
	v_add_co_u32 v6, s2, v2, s36
	s_delay_alu instid0(VALU_DEP_1) | instskip(SKIP_1) | instid1(VALU_DEP_1)
	s_cmp_lg_u32 s2, 0
	s_add_co_ci_u32 s2, s35, s37
	v_mul_hi_u32 v12, v8, v6
	s_wait_alu 0xfffe
	v_mad_co_u64_u32 v[2:3], null, v8, s2, 0
	v_mad_co_u64_u32 v[6:7], null, v9, v6, 0
	;; [unrolled: 1-line block ×3, first 2 shown]
	s_delay_alu instid0(VALU_DEP_3) | instskip(SKIP_1) | instid1(VALU_DEP_4)
	v_add_co_u32 v2, vcc_lo, v12, v2
	s_wait_alu 0xfffd
	v_add_co_ci_u32_e32 v3, vcc_lo, 0, v3, vcc_lo
	s_delay_alu instid0(VALU_DEP_2) | instskip(SKIP_1) | instid1(VALU_DEP_2)
	v_add_co_u32 v2, vcc_lo, v2, v6
	s_wait_alu 0xfffd
	v_add_co_ci_u32_e32 v2, vcc_lo, v3, v7, vcc_lo
	s_wait_alu 0xfffd
	v_add_co_ci_u32_e32 v3, vcc_lo, 0, v11, vcc_lo
	s_delay_alu instid0(VALU_DEP_2) | instskip(SKIP_1) | instid1(VALU_DEP_2)
	v_add_co_u32 v6, vcc_lo, v2, v10
	s_wait_alu 0xfffd
	v_add_co_ci_u32_e32 v7, vcc_lo, 0, v3, vcc_lo
	s_delay_alu instid0(VALU_DEP_2) | instskip(SKIP_1) | instid1(VALU_DEP_3)
	v_mul_lo_u32 v10, s29, v6
	v_mad_co_u64_u32 v[2:3], null, s28, v6, 0
	v_mul_lo_u32 v11, s28, v7
	s_delay_alu instid0(VALU_DEP_2) | instskip(NEXT) | instid1(VALU_DEP_2)
	v_sub_co_u32 v2, vcc_lo, v8, v2
	v_add3_u32 v3, v3, v11, v10
	s_delay_alu instid0(VALU_DEP_1) | instskip(SKIP_1) | instid1(VALU_DEP_1)
	v_sub_nc_u32_e32 v10, v9, v3
	s_wait_alu 0xfffd
	v_subrev_co_ci_u32_e64 v10, s2, s29, v10, vcc_lo
	v_add_co_u32 v11, s2, v6, 2
	s_wait_alu 0xf1ff
	v_add_co_ci_u32_e64 v12, s2, 0, v7, s2
	v_sub_co_u32 v13, s2, v2, s28
	v_sub_co_ci_u32_e32 v3, vcc_lo, v9, v3, vcc_lo
	s_wait_alu 0xf1ff
	v_subrev_co_ci_u32_e64 v10, s2, 0, v10, s2
	s_delay_alu instid0(VALU_DEP_3) | instskip(NEXT) | instid1(VALU_DEP_3)
	v_cmp_le_u32_e32 vcc_lo, s28, v13
	v_cmp_eq_u32_e64 s2, s29, v3
	s_wait_alu 0xfffd
	v_cndmask_b32_e64 v13, 0, -1, vcc_lo
	v_cmp_le_u32_e32 vcc_lo, s29, v10
	s_wait_alu 0xfffd
	v_cndmask_b32_e64 v14, 0, -1, vcc_lo
	v_cmp_le_u32_e32 vcc_lo, s28, v2
	;; [unrolled: 3-line block ×3, first 2 shown]
	s_wait_alu 0xfffd
	v_cndmask_b32_e64 v15, 0, -1, vcc_lo
	v_cmp_eq_u32_e32 vcc_lo, s29, v10
	s_wait_alu 0xf1ff
	s_delay_alu instid0(VALU_DEP_2)
	v_cndmask_b32_e64 v2, v15, v2, s2
	s_wait_alu 0xfffd
	v_cndmask_b32_e32 v10, v14, v13, vcc_lo
	v_add_co_u32 v13, vcc_lo, v6, 1
	s_wait_alu 0xfffd
	v_add_co_ci_u32_e32 v14, vcc_lo, 0, v7, vcc_lo
	s_delay_alu instid0(VALU_DEP_3) | instskip(SKIP_1) | instid1(VALU_DEP_2)
	v_cmp_ne_u32_e32 vcc_lo, 0, v10
	s_wait_alu 0xfffd
	v_dual_cndmask_b32 v3, v14, v12 :: v_dual_cndmask_b32 v10, v13, v11
	v_cmp_ne_u32_e32 vcc_lo, 0, v2
	s_wait_alu 0xfffd
	s_delay_alu instid0(VALU_DEP_2)
	v_dual_cndmask_b32 v7, v7, v3 :: v_dual_cndmask_b32 v6, v6, v10
.LBB0_4:                                ;   in Loop: Header=BB0_2 Depth=1
	s_wait_alu 0xfffe
	s_and_not1_saveexec_b32 s2, s30
	s_cbranch_execz .LBB0_6
; %bb.5:                                ;   in Loop: Header=BB0_2 Depth=1
	v_cvt_f32_u32_e32 v2, s28
	s_sub_co_i32 s30, 0, s28
	s_delay_alu instid0(VALU_DEP_1) | instskip(NEXT) | instid1(TRANS32_DEP_1)
	v_rcp_iflag_f32_e32 v2, v2
	v_mul_f32_e32 v2, 0x4f7ffffe, v2
	s_delay_alu instid0(VALU_DEP_1) | instskip(SKIP_1) | instid1(VALU_DEP_1)
	v_cvt_u32_f32_e32 v2, v2
	s_wait_alu 0xfffe
	v_mul_lo_u32 v3, s30, v2
	s_delay_alu instid0(VALU_DEP_1) | instskip(NEXT) | instid1(VALU_DEP_1)
	v_mul_hi_u32 v3, v2, v3
	v_add_nc_u32_e32 v2, v2, v3
	s_delay_alu instid0(VALU_DEP_1) | instskip(NEXT) | instid1(VALU_DEP_1)
	v_mul_hi_u32 v2, v8, v2
	v_mul_lo_u32 v3, v2, s28
	v_add_nc_u32_e32 v6, 1, v2
	s_delay_alu instid0(VALU_DEP_2) | instskip(NEXT) | instid1(VALU_DEP_1)
	v_sub_nc_u32_e32 v3, v8, v3
	v_subrev_nc_u32_e32 v7, s28, v3
	v_cmp_le_u32_e32 vcc_lo, s28, v3
	s_wait_alu 0xfffd
	s_delay_alu instid0(VALU_DEP_2) | instskip(SKIP_1) | instid1(VALU_DEP_2)
	v_cndmask_b32_e32 v3, v3, v7, vcc_lo
	v_dual_mov_b32 v7, v1 :: v_dual_cndmask_b32 v2, v2, v6
	v_cmp_le_u32_e32 vcc_lo, s28, v3
	s_delay_alu instid0(VALU_DEP_2) | instskip(SKIP_1) | instid1(VALU_DEP_1)
	v_add_nc_u32_e32 v6, 1, v2
	s_wait_alu 0xfffd
	v_cndmask_b32_e32 v6, v2, v6, vcc_lo
.LBB0_6:                                ;   in Loop: Header=BB0_2 Depth=1
	s_wait_alu 0xfffe
	s_or_b32 exec_lo, exec_lo, s2
	v_mul_lo_u32 v10, v7, s28
	s_delay_alu instid0(VALU_DEP_2)
	v_mul_lo_u32 v11, v6, s29
	s_load_b64 s[30:31], s[22:23], 0x0
	v_mad_co_u64_u32 v[2:3], null, v6, s28, 0
	s_load_b64 s[28:29], s[20:21], 0x0
	s_add_nc_u64 s[24:25], s[24:25], 1
	s_add_nc_u64 s[20:21], s[20:21], 8
	s_wait_alu 0xfffe
	v_cmp_ge_u64_e64 s2, s[24:25], s[10:11]
	s_add_nc_u64 s[22:23], s[22:23], 8
	s_add_nc_u64 s[26:27], s[26:27], 8
	v_add3_u32 v3, v3, v11, v10
	v_sub_co_u32 v2, vcc_lo, v8, v2
	s_wait_alu 0xfffd
	s_delay_alu instid0(VALU_DEP_2) | instskip(SKIP_2) | instid1(VALU_DEP_1)
	v_sub_co_ci_u32_e32 v3, vcc_lo, v9, v3, vcc_lo
	s_and_b32 vcc_lo, exec_lo, s2
	s_wait_kmcnt 0x0
	v_mul_lo_u32 v8, s30, v3
	v_mul_lo_u32 v9, s31, v2
	v_mad_co_u64_u32 v[18:19], null, s30, v2, v[18:19]
	v_mul_lo_u32 v3, s28, v3
	v_mul_lo_u32 v10, s29, v2
	v_mad_co_u64_u32 v[4:5], null, s28, v2, v[4:5]
	s_delay_alu instid0(VALU_DEP_4) | instskip(NEXT) | instid1(VALU_DEP_2)
	v_add3_u32 v19, v9, v19, v8
	v_add3_u32 v5, v10, v5, v3
	s_wait_alu 0xfffe
	s_cbranch_vccnz .LBB0_9
; %bb.7:                                ;   in Loop: Header=BB0_2 Depth=1
	v_dual_mov_b32 v9, v7 :: v_dual_mov_b32 v8, v6
	s_branch .LBB0_2
.LBB0_8:
	v_dual_mov_b32 v4, v18 :: v_dual_mov_b32 v5, v19
	s_delay_alu instid0(VALU_DEP_2)
	v_dual_mov_b32 v6, v8 :: v_dual_mov_b32 v7, v9
.LBB0_9:
	s_load_b64 s[0:1], s[0:1], 0x28
	v_mul_hi_u32 v2, 0x1234568, v0
	s_lshl_b64 s[10:11], s[10:11], 3
                                        ; implicit-def: $vgpr35
                                        ; implicit-def: $vgpr36
                                        ; implicit-def: $vgpr38
                                        ; implicit-def: $vgpr37
                                        ; implicit-def: $vgpr39
	s_wait_kmcnt 0x0
	v_cmp_gt_u64_e32 vcc_lo, s[0:1], v[6:7]
	v_cmp_le_u64_e64 s0, s[0:1], v[6:7]
	s_delay_alu instid0(VALU_DEP_1)
	s_and_saveexec_b32 s1, s0
	s_wait_alu 0xfffe
	s_xor_b32 s0, exec_lo, s1
; %bb.10:
	v_mul_u32_u24_e32 v1, 0xe1, v2
                                        ; implicit-def: $vgpr2
                                        ; implicit-def: $vgpr18_vgpr19
	s_delay_alu instid0(VALU_DEP_1) | instskip(NEXT) | instid1(VALU_DEP_1)
	v_sub_nc_u32_e32 v35, v0, v1
                                        ; implicit-def: $vgpr0
	v_add_nc_u32_e32 v36, 0xe1, v35
	v_add_nc_u32_e32 v38, 0x1c2, v35
	v_add_nc_u32_e32 v37, 0x2a3, v35
	v_add_nc_u32_e32 v39, 0x384, v35
; %bb.11:
	s_wait_alu 0xfffe
	s_or_saveexec_b32 s1, s0
	s_add_nc_u64 s[2:3], s[14:15], s[10:11]
                                        ; implicit-def: $vgpr17
                                        ; implicit-def: $vgpr11
                                        ; implicit-def: $vgpr15
                                        ; implicit-def: $vgpr13
                                        ; implicit-def: $vgpr9
                                        ; implicit-def: $vgpr32
                                        ; implicit-def: $vgpr30
                                        ; implicit-def: $vgpr22
                                        ; implicit-def: $vgpr20
                                        ; implicit-def: $vgpr3
                                        ; implicit-def: $vgpr34
                                        ; implicit-def: $vgpr24
                                        ; implicit-def: $vgpr28
                                        ; implicit-def: $vgpr26
                                        ; implicit-def: $vgpr1
	s_wait_alu 0xfffe
	s_xor_b32 exec_lo, exec_lo, s1
	s_cbranch_execz .LBB0_13
; %bb.12:
	v_mul_u32_u24_e32 v1, 0xe1, v2
	s_add_nc_u64 s[10:11], s[12:13], s[10:11]
	s_load_b64 s[10:11], s[10:11], 0x0
	s_delay_alu instid0(VALU_DEP_1) | instskip(SKIP_1) | instid1(VALU_DEP_2)
	v_sub_nc_u32_e32 v35, v0, v1
	v_lshlrev_b64_e32 v[0:1], 3, v[18:19]
	v_mad_co_u64_u32 v[2:3], null, s18, v35, 0
	v_add_nc_u32_e32 v23, 0xa8c, v35
	v_add_nc_u32_e32 v21, 0x546, v35
	;; [unrolled: 1-line block ×6, first 2 shown]
	v_mad_co_u64_u32 v[16:17], null, s19, v35, v[3:4]
	v_mad_co_u64_u32 v[17:18], null, s18, v23, 0
	v_add_nc_u32_e32 v37, 0x2a3, v35
	s_wait_kmcnt 0x0
	v_mul_lo_u32 v19, s11, v6
	v_mul_lo_u32 v20, s10, v7
	v_mad_co_u64_u32 v[12:13], null, s10, v6, 0
	v_mad_co_u64_u32 v[8:9], null, s18, v37, 0
	v_add_nc_u32_e32 v22, 0x7e9, v35
	v_mad_co_u64_u32 v[10:11], null, s18, v21, 0
	v_mad_co_u64_u32 v[31:32], null, s18, v38, 0
	v_add3_u32 v13, v13, v20, v19
	v_mov_b32_e32 v3, v9
	v_mad_co_u64_u32 v[14:15], null, s18, v22, 0
	v_mov_b32_e32 v9, v11
	s_delay_alu instid0(VALU_DEP_4) | instskip(NEXT) | instid1(VALU_DEP_4)
	v_lshlrev_b64_e32 v[12:13], 3, v[12:13]
	v_mad_co_u64_u32 v[19:20], null, s19, v37, v[3:4]
	v_mov_b32_e32 v3, v16
	v_add_nc_u32_e32 v43, 0x9ab, v35
	v_mov_b32_e32 v11, v15
	v_mad_co_u64_u32 v[15:16], null, s19, v21, v[9:10]
	s_delay_alu instid0(VALU_DEP_4) | instskip(SKIP_1) | instid1(VALU_DEP_4)
	v_lshlrev_b64_e32 v[2:3], 3, v[2:3]
	v_mov_b32_e32 v9, v19
	v_mad_co_u64_u32 v[20:21], null, s19, v22, v[11:12]
	v_add_co_u32 v11, s0, s4, v12
	s_wait_alu 0xf1ff
	v_add_co_ci_u32_e64 v12, s0, s5, v13, s0
	s_delay_alu instid0(VALU_DEP_2)
	v_add_co_u32 v48, s0, v11, v0
	v_mov_b32_e32 v11, v15
	v_mov_b32_e32 v15, v20
	s_wait_alu 0xf1ff
	v_add_co_ci_u32_e64 v49, s0, v12, v1, s0
	v_lshlrev_b64_e32 v[0:1], 3, v[8:9]
	v_add_co_u32 v2, s0, v48, v2
	v_lshlrev_b64_e32 v[12:13], 3, v[14:15]
	v_mad_co_u64_u32 v[14:15], null, s18, v36, 0
	s_wait_alu 0xf1ff
	v_add_co_ci_u32_e64 v3, s0, v49, v3, s0
	v_add_co_u32 v8, s0, v48, v0
	v_mov_b32_e32 v0, v18
	v_lshlrev_b64_e32 v[10:11], 3, v[10:11]
	s_wait_alu 0xf1ff
	v_add_co_ci_u32_e64 v9, s0, v49, v1, s0
	v_mad_co_u64_u32 v[19:20], null, s18, v39, 0
	v_mad_co_u64_u32 v[0:1], null, s19, v23, v[0:1]
	v_mov_b32_e32 v1, v15
	v_add_co_u32 v10, s0, v48, v10
	s_wait_alu 0xf1ff
	v_add_co_ci_u32_e64 v11, s0, v49, v11, s0
	s_delay_alu instid0(VALU_DEP_3)
	v_mad_co_u64_u32 v[15:16], null, s19, v36, v[1:2]
	v_add_nc_u32_e32 v16, 0x627, v35
	v_add_co_u32 v12, s0, v48, v12
	s_wait_alu 0xf1ff
	v_add_co_ci_u32_e64 v13, s0, v49, v13, s0
	v_mov_b32_e32 v18, v0
	s_clause 0x3
	global_load_b64 v[0:1], v[2:3], off
	global_load_b64 v[25:26], v[8:9], off
	;; [unrolled: 1-line block ×4, first 2 shown]
	v_mad_co_u64_u32 v[9:10], null, s18, v16, 0
	v_mov_b32_e32 v8, v20
	v_lshlrev_b64_e32 v[2:3], 3, v[17:18]
	v_add_nc_u32_e32 v18, 0x8ca, v35
	s_delay_alu instid0(VALU_DEP_3)
	v_mad_co_u64_u32 v[11:12], null, s19, v39, v[8:9]
	v_mov_b32_e32 v8, v10
	v_lshlrev_b64_e32 v[12:13], 3, v[14:15]
	v_add_co_u32 v2, s0, v48, v2
	v_mad_co_u64_u32 v[14:15], null, s18, v18, 0
	v_mov_b32_e32 v20, v11
	v_mad_co_u64_u32 v[10:11], null, s19, v16, v[8:9]
	s_wait_alu 0xf1ff
	v_add_co_ci_u32_e64 v3, s0, v49, v3, s0
	v_add_co_u32 v11, s0, v48, v12
	s_wait_alu 0xf1ff
	v_add_co_ci_u32_e64 v12, s0, v49, v13, s0
	v_add_nc_u32_e32 v13, 0xb6d, v35
	v_lshlrev_b64_e32 v[9:10], 3, v[9:10]
	v_lshlrev_b64_e32 v[16:17], 3, v[19:20]
	v_mov_b32_e32 v8, v15
	s_delay_alu instid0(VALU_DEP_4) | instskip(NEXT) | instid1(VALU_DEP_2)
	v_mad_co_u64_u32 v[29:30], null, s18, v13, 0
	v_mad_co_u64_u32 v[18:19], null, s19, v18, v[8:9]
	s_delay_alu instid0(VALU_DEP_4) | instskip(SKIP_2) | instid1(VALU_DEP_4)
	v_add_co_u32 v16, s0, v48, v16
	s_wait_alu 0xf1ff
	v_add_co_ci_u32_e64 v17, s0, v49, v17, s0
	v_mov_b32_e32 v8, v30
	v_add_co_u32 v9, s0, v48, v9
	v_mov_b32_e32 v15, v18
	s_wait_alu 0xf1ff
	v_add_co_ci_u32_e64 v10, s0, v49, v10, s0
	s_delay_alu instid0(VALU_DEP_3)
	v_mad_co_u64_u32 v[18:19], null, s19, v13, v[8:9]
	s_clause 0x3
	global_load_b64 v[33:34], v[2:3], off
	global_load_b64 v[2:3], v[11:12], off
	;; [unrolled: 1-line block ×4, first 2 shown]
	v_mad_co_u64_u32 v[11:12], null, s18, v40, 0
	v_mov_b32_e32 v10, v32
	v_lshlrev_b64_e32 v[8:9], 3, v[14:15]
	v_mov_b32_e32 v30, v18
	v_add_nc_u32_e32 v18, 0x708, v35
	s_delay_alu instid0(VALU_DEP_4) | instskip(SKIP_1) | instid1(VALU_DEP_3)
	v_mad_co_u64_u32 v[13:14], null, s19, v38, v[10:11]
	v_mov_b32_e32 v10, v12
	v_mad_co_u64_u32 v[14:15], null, s18, v18, 0
	v_lshlrev_b64_e32 v[16:17], 3, v[29:30]
	v_mad_co_u64_u32 v[29:30], null, s18, v43, 0
	v_mov_b32_e32 v32, v13
	v_mad_co_u64_u32 v[12:13], null, s19, v40, v[10:11]
	v_dual_mov_b32 v10, v15 :: v_dual_add_nc_u32 v13, 0xc4e, v35
	v_add_co_u32 v8, s0, v48, v8
	s_wait_alu 0xf1ff
	v_add_co_ci_u32_e64 v9, s0, v49, v9, s0
	s_delay_alu instid0(VALU_DEP_3)
	v_mad_co_u64_u32 v[40:41], null, s19, v18, v[10:11]
	v_mad_co_u64_u32 v[41:42], null, s18, v13, 0
	v_mov_b32_e32 v10, v30
	v_lshlrev_b64_e32 v[30:31], 3, v[31:32]
	v_add_co_u32 v16, s0, v48, v16
	s_wait_alu 0xf1ff
	v_add_co_ci_u32_e64 v17, s0, v49, v17, s0
	v_mad_co_u64_u32 v[43:44], null, s19, v43, v[10:11]
	v_lshlrev_b64_e32 v[11:12], 3, v[11:12]
	v_mov_b32_e32 v10, v42
	v_add_co_u32 v44, s0, v48, v30
	s_wait_alu 0xf1ff
	v_add_co_ci_u32_e64 v45, s0, v49, v31, s0
	s_delay_alu instid0(VALU_DEP_3) | instskip(SKIP_4) | instid1(VALU_DEP_3)
	v_mad_co_u64_u32 v[31:32], null, s19, v13, v[10:11]
	v_dual_mov_b32 v15, v40 :: v_dual_mov_b32 v30, v43
	v_add_co_u32 v10, s0, v48, v11
	s_wait_alu 0xf1ff
	v_add_co_ci_u32_e64 v11, s0, v49, v12, s0
	v_lshlrev_b64_e32 v[13:14], 3, v[14:15]
	v_mov_b32_e32 v42, v31
	v_lshlrev_b64_e32 v[29:30], 3, v[29:30]
	s_delay_alu instid0(VALU_DEP_3) | instskip(NEXT) | instid1(VALU_DEP_3)
	v_add_co_u32 v46, s0, v48, v13
	v_lshlrev_b64_e32 v[12:13], 3, v[41:42]
	s_wait_alu 0xf1ff
	v_add_co_ci_u32_e64 v47, s0, v49, v14, s0
	s_delay_alu instid0(VALU_DEP_4)
	v_add_co_u32 v40, s0, v48, v29
	s_wait_alu 0xf1ff
	v_add_co_ci_u32_e64 v41, s0, v49, v30, s0
	v_add_co_u32 v42, s0, v48, v12
	s_wait_alu 0xf1ff
	v_add_co_ci_u32_e64 v43, s0, v49, v13, s0
	s_clause 0x6
	global_load_b64 v[29:30], v[8:9], off
	global_load_b64 v[31:32], v[16:17], off
	;; [unrolled: 1-line block ×7, first 2 shown]
.LBB0_13:
	s_or_b32 exec_lo, exec_lo, s1
	s_wait_loadcnt 0xa
	v_dual_add_f32 v18, v23, v27 :: v_dual_sub_f32 v41, v26, v34
	v_dual_add_f32 v40, v25, v0 :: v_dual_sub_f32 v47, v27, v25
	;; [unrolled: 1-line block ×3, first 2 shown]
	v_sub_f32_e32 v43, v25, v27
	s_delay_alu instid0(VALU_DEP_4) | instskip(NEXT) | instid1(VALU_DEP_4)
	v_fma_f32 v18, -0.5, v18, v0
	v_add_f32_e32 v40, v27, v40
	s_delay_alu instid0(VALU_DEP_4) | instskip(SKIP_3) | instid1(VALU_DEP_3)
	v_dual_fmac_f32 v0, -0.5, v45 :: v_dual_add_f32 v49, v24, v28
	v_sub_f32_e32 v44, v33, v23
	v_add_f32_e32 v48, v26, v1
	s_load_b64 s[2:3], s[2:3], 0x0
	v_fmamk_f32 v45, v42, 0xbf737871, v0
	s_delay_alu instid0(VALU_DEP_3) | instskip(SKIP_1) | instid1(VALU_DEP_3)
	v_dual_fmamk_f32 v46, v41, 0x3f737871, v18 :: v_dual_add_f32 v43, v44, v43
	v_fmac_f32_e32 v18, 0xbf737871, v41
	v_dual_add_f32 v40, v23, v40 :: v_dual_fmac_f32 v45, 0x3f167918, v41
	s_delay_alu instid0(VALU_DEP_3) | instskip(SKIP_1) | instid1(VALU_DEP_4)
	v_dual_fmac_f32 v46, 0x3f167918, v42 :: v_dual_sub_f32 v25, v25, v33
	v_sub_f32_e32 v44, v23, v33
	v_fmac_f32_e32 v18, 0xbf167918, v42
	s_delay_alu instid0(VALU_DEP_4) | instskip(NEXT) | instid1(VALU_DEP_3)
	v_dual_add_f32 v40, v33, v40 :: v_dual_sub_f32 v23, v27, v23
	v_dual_sub_f32 v27, v26, v28 :: v_dual_add_f32 v44, v44, v47
	v_fmac_f32_e32 v46, 0x3e9e377a, v43
	v_fma_f32 v47, -0.5, v49, v1
	v_dual_fmac_f32 v18, 0x3e9e377a, v43 :: v_dual_sub_f32 v43, v34, v24
	v_fmac_f32_e32 v0, 0x3f737871, v42
	v_fmac_f32_e32 v45, 0x3e9e377a, v44
	v_cmp_gt_u32_e64 s0, 0x7d, v35
	s_wait_loadcnt 0x6
	v_add_f32_e32 v49, v30, v22
	v_dual_add_f32 v27, v43, v27 :: v_dual_fmac_f32 v0, 0xbf167918, v41
	v_dual_fmamk_f32 v41, v25, 0xbf737871, v47 :: v_dual_add_f32 v42, v28, v48
	v_fmac_f32_e32 v47, 0x3f737871, v25
	s_delay_alu instid0(VALU_DEP_2) | instskip(NEXT) | instid1(VALU_DEP_3)
	v_fmac_f32_e32 v41, 0xbf167918, v23
	v_add_f32_e32 v33, v24, v42
	v_add_f32_e32 v42, v34, v26
	s_delay_alu instid0(VALU_DEP_4) | instskip(NEXT) | instid1(VALU_DEP_4)
	v_dual_sub_f32 v26, v28, v26 :: v_dual_fmac_f32 v47, 0x3f167918, v23
	v_dual_add_f32 v28, v29, v21 :: v_dual_fmac_f32 v41, 0x3e9e377a, v27
	s_delay_alu instid0(VALU_DEP_3)
	v_dual_fmac_f32 v1, -0.5, v42 :: v_dual_add_f32 v42, v34, v33
	s_wait_loadcnt 0x5
	v_sub_f32_e32 v33, v20, v32
	v_fmac_f32_e32 v47, 0x3e9e377a, v27
	v_fma_f32 v28, -0.5, v28, v2
	v_dual_fmamk_f32 v43, v23, 0x3f737871, v1 :: v_dual_sub_f32 v24, v24, v34
	v_fmac_f32_e32 v1, 0xbf737871, v23
	v_dual_sub_f32 v27, v22, v30 :: v_dual_add_f32 v48, v31, v19
	s_delay_alu instid0(VALU_DEP_3) | instskip(NEXT) | instid1(VALU_DEP_3)
	v_dual_fmac_f32 v43, 0xbf167918, v25 :: v_dual_add_f32 v24, v24, v26
	v_dual_add_f32 v26, v19, v2 :: v_dual_fmac_f32 v1, 0x3f167918, v25
	s_delay_alu instid0(VALU_DEP_2) | instskip(NEXT) | instid1(VALU_DEP_2)
	v_fmac_f32_e32 v43, 0x3e9e377a, v24
	v_dual_add_f32 v23, v21, v26 :: v_dual_fmac_f32 v0, 0x3e9e377a, v44
	v_fmamk_f32 v26, v33, 0x3f737871, v28
	v_sub_f32_e32 v34, v19, v21
	v_dual_sub_f32 v44, v31, v29 :: v_dual_fmac_f32 v1, 0x3e9e377a, v24
	s_delay_alu instid0(VALU_DEP_4) | instskip(NEXT) | instid1(VALU_DEP_2)
	v_dual_fmac_f32 v28, 0xbf737871, v33 :: v_dual_add_f32 v23, v29, v23
	v_dual_fmac_f32 v26, 0x3f167918, v27 :: v_dual_add_f32 v25, v44, v34
	v_fmac_f32_e32 v2, -0.5, v48
	v_sub_f32_e32 v24, v21, v19
	s_delay_alu instid0(VALU_DEP_4) | instskip(SKIP_3) | instid1(VALU_DEP_3)
	v_dual_fmac_f32 v28, 0xbf167918, v27 :: v_dual_sub_f32 v21, v21, v29
	v_add_f32_e32 v48, v20, v3
	v_dual_add_f32 v23, v31, v23 :: v_dual_fmac_f32 v26, 0x3e9e377a, v25
	v_fmamk_f32 v34, v27, 0xbf737871, v2
	v_dual_fmac_f32 v2, 0x3f737871, v27 :: v_dual_add_f32 v27, v22, v48
	v_sub_f32_e32 v44, v29, v31
	v_dual_fmac_f32 v28, 0x3e9e377a, v25 :: v_dual_sub_f32 v19, v19, v31
	v_sub_f32_e32 v29, v20, v22
	s_delay_alu instid0(VALU_DEP_4) | instskip(SKIP_4) | instid1(VALU_DEP_3)
	v_add_f32_e32 v25, v30, v27
	v_dual_add_f32 v27, v32, v20 :: v_dual_fmac_f32 v34, 0x3f167918, v33
	v_add_f32_e32 v24, v44, v24
	v_fma_f32 v44, -0.5, v49, v3
	v_dual_fmac_f32 v2, 0xbf167918, v33 :: v_dual_sub_f32 v33, v32, v30
	v_dual_fmac_f32 v3, -0.5, v27 :: v_dual_fmac_f32 v34, 0x3e9e377a, v24
	v_add_f32_e32 v48, v32, v25
	s_delay_alu instid0(VALU_DEP_3) | instskip(NEXT) | instid1(VALU_DEP_4)
	v_fmac_f32_e32 v2, 0x3e9e377a, v24
	v_add_f32_e32 v24, v33, v29
	s_delay_alu instid0(VALU_DEP_4)
	v_dual_fmamk_f32 v29, v21, 0x3f737871, v3 :: v_dual_sub_f32 v20, v22, v20
	v_dual_fmac_f32 v3, 0xbf737871, v21 :: v_dual_sub_f32 v22, v30, v32
	s_wait_loadcnt 0x1
	v_add_f32_e32 v25, v10, v14
	v_fmamk_f32 v31, v19, 0xbf737871, v44
	v_fmac_f32_e32 v29, 0xbf167918, v19
	v_fmac_f32_e32 v3, 0x3f167918, v19
	s_wait_loadcnt 0x0
	v_sub_f32_e32 v33, v10, v16
	v_fma_f32 v27, -0.5, v25, v8
	v_add_f32_e32 v20, v22, v20
	v_sub_f32_e32 v22, v13, v17
	v_fmac_f32_e32 v44, 0x3f737871, v19
	v_fmac_f32_e32 v31, 0xbf167918, v21
	s_delay_alu instid0(VALU_DEP_2) | instskip(SKIP_1) | instid1(VALU_DEP_3)
	v_dual_sub_f32 v25, v12, v14 :: v_dual_fmac_f32 v44, 0x3f167918, v21
	v_add_f32_e32 v21, v12, v8
	v_fmac_f32_e32 v31, 0x3e9e377a, v24
	s_delay_alu instid0(VALU_DEP_2) | instskip(SKIP_3) | instid1(VALU_DEP_4)
	v_dual_add_f32 v19, v14, v21 :: v_dual_fmac_f32 v44, 0x3e9e377a, v24
	v_dual_fmamk_f32 v21, v22, 0x3f737871, v27 :: v_dual_sub_f32 v24, v15, v11
	v_sub_f32_e32 v30, v16, v10
	v_fmac_f32_e32 v27, 0xbf737871, v22
	v_add_f32_e32 v19, v10, v19
	v_fmac_f32_e32 v29, 0x3e9e377a, v20
	v_fmac_f32_e32 v21, 0x3f167918, v24
	v_dual_add_f32 v32, v16, v12 :: v_dual_add_f32 v25, v30, v25
	v_dual_fmac_f32 v27, 0xbf167918, v24 :: v_dual_add_f32 v30, v11, v15
	s_delay_alu instid0(VALU_DEP_2) | instskip(NEXT) | instid1(VALU_DEP_3)
	v_dual_add_f32 v19, v16, v19 :: v_dual_fmac_f32 v8, -0.5, v32
	v_dual_fmac_f32 v21, 0x3e9e377a, v25 :: v_dual_sub_f32 v32, v14, v12
	s_delay_alu instid0(VALU_DEP_3)
	v_dual_fmac_f32 v27, 0x3e9e377a, v25 :: v_dual_sub_f32 v12, v12, v16
	v_add_f32_e32 v25, v13, v9
	v_fmac_f32_e32 v3, 0x3e9e377a, v20
	v_fmamk_f32 v20, v24, 0xbf737871, v8
	v_fmac_f32_e32 v8, 0x3f737871, v24
	v_fma_f32 v30, -0.5, v30, v9
	v_add_f32_e32 v24, v15, v25
	v_add_f32_e32 v16, v33, v32
	v_fmac_f32_e32 v20, 0x3f167918, v22
	v_fmac_f32_e32 v8, 0xbf167918, v22
	v_dual_fmamk_f32 v49, v12, 0xbf737871, v30 :: v_dual_sub_f32 v10, v14, v10
	v_add_f32_e32 v22, v11, v24
	v_add_f32_e32 v24, v17, v13
	v_fmac_f32_e32 v30, 0x3f737871, v12
	v_mad_i32_i24 v25, v38, 20, 0
	s_delay_alu instid0(VALU_DEP_3)
	v_fmac_f32_e32 v9, -0.5, v24
	v_fmac_f32_e32 v20, 0x3e9e377a, v16
	v_dual_sub_f32 v14, v13, v15 :: v_dual_sub_f32 v13, v15, v13
	v_fmac_f32_e32 v8, 0x3e9e377a, v16
	v_dual_sub_f32 v16, v17, v11 :: v_dual_sub_f32 v11, v11, v17
	v_fmac_f32_e32 v49, 0xbf167918, v10
	v_dual_fmamk_f32 v51, v10, 0x3f737871, v9 :: v_dual_add_f32 v50, v17, v22
	v_mad_u32_u24 v17, v35, 20, 0
	v_fmac_f32_e32 v9, 0xbf737871, v10
	ds_store_2addr_b32 v17, v40, v46 offset1:1
	ds_store_2addr_b32 v17, v45, v0 offset0:2 offset1:3
	ds_store_b32 v17, v18 offset:16
	v_dual_fmac_f32 v51, 0xbf167918, v12 :: v_dual_lshlrev_b32 v0, 4, v35
	v_dual_fmac_f32 v30, 0x3f167918, v10 :: v_dual_fmac_f32 v9, 0x3f167918, v12
	v_dual_add_f32 v14, v16, v14 :: v_dual_and_b32 v15, 0xff, v35
	v_mad_i32_i24 v24, v36, 20, 0
	s_delay_alu instid0(VALU_DEP_4) | instskip(NEXT) | instid1(VALU_DEP_3)
	v_sub_nc_u32_e32 v22, v17, v0
	v_dual_add_f32 v10, v11, v13 :: v_dual_fmac_f32 v49, 0x3e9e377a, v14
	ds_store_2addr_b32 v24, v23, v26 offset1:1
	ds_store_2addr_b32 v24, v34, v2 offset0:2 offset1:3
	ds_store_b32 v24, v28 offset:16
	v_add_nc_u32_e32 v11, 0x1c00, v22
	v_fmac_f32_e32 v51, 0x3e9e377a, v10
	v_dual_fmac_f32 v9, 0x3e9e377a, v10 :: v_dual_lshlrev_b32 v26, 4, v36
	ds_store_2addr_b32 v25, v19, v21 offset1:1
	ds_store_2addr_b32 v25, v20, v8 offset0:2 offset1:3
	ds_store_b32 v25, v27 offset:16
	v_add_nc_u32_e32 v10, 0x1500, v22
	v_mul_lo_u16 v8, 0xcd, v15
	v_lshlrev_b32_e32 v27, 4, v38
	global_wb scope:SCOPE_SE
	s_wait_dscnt 0x0
	s_wait_kmcnt 0x0
	s_barrier_signal -1
	s_barrier_wait -1
	global_inv scope:SCOPE_SE
	ds_load_b32 v16, v22
	ds_load_2addr_b32 v[32:33], v10 offset0:6 offset1:231
	ds_load_2addr_b32 v[60:61], v11 offset0:8 offset1:233
	v_add_nc_u32_e32 v12, 0x2a00, v22
	v_add_nc_u32_e32 v13, 0xe00, v22
	v_sub_nc_u32_e32 v0, v24, v26
	v_lshrrev_b16 v78, 10, v8
	v_fmac_f32_e32 v30, 0x3e9e377a, v14
	v_add_nc_u32_e32 v14, 0x2300, v22
	v_sub_nc_u32_e32 v2, v25, v27
	v_lshl_add_u32 v23, v37, 2, 0
	ds_load_2addr_b32 v[62:63], v12 offset0:12 offset1:237
	ds_load_2addr_b32 v[64:65], v13 offset0:4 offset1:229
	;; [unrolled: 1-line block ×3, first 2 shown]
	ds_load_b32 v20, v0
	ds_load_b32 v19, v2
	;; [unrolled: 1-line block ×3, first 2 shown]
	ds_load_b32 v34, v22 offset:12600
	global_wb scope:SCOPE_SE
	s_wait_dscnt 0x0
	s_barrier_signal -1
	s_barrier_wait -1
	global_inv scope:SCOPE_SE
	ds_store_2addr_b32 v17, v42, v41 offset1:1
	ds_store_2addr_b32 v17, v43, v1 offset0:2 offset1:3
	ds_store_b32 v17, v47 offset:16
	v_mul_lo_u16 v1, v78, 5
	ds_store_2addr_b32 v24, v48, v31 offset1:1
	ds_store_2addr_b32 v24, v29, v3 offset0:2 offset1:3
	ds_store_b32 v24, v44 offset:16
	v_mul_lo_u16 v15, v15, 41
	v_sub_nc_u16 v3, v35, v1
	s_delay_alu instid0(VALU_DEP_1) | instskip(NEXT) | instid1(VALU_DEP_1)
	v_and_b32_e32 v3, 0xff, v3
	v_lshlrev_b32_e32 v18, 5, v3
	v_lshlrev_b32_e32 v3, 2, v3
	ds_store_2addr_b32 v25, v50, v49 offset1:1
	ds_store_2addr_b32 v25, v51, v9 offset0:2 offset1:3
	ds_store_b32 v25, v30 offset:16
	global_wb scope:SCOPE_SE
	s_wait_dscnt 0x0
	s_barrier_signal -1
	s_barrier_wait -1
	global_inv scope:SCOPE_SE
	s_clause 0x1
	global_load_b128 v[28:31], v18, s[8:9]
	global_load_b128 v[40:43], v18, s[8:9] offset:16
	v_and_b32_e32 v8, 0xffff, v36
	v_and_b32_e32 v1, 0xffff, v38
	s_delay_alu instid0(VALU_DEP_2) | instskip(NEXT) | instid1(VALU_DEP_1)
	v_mul_u32_u24_e32 v17, 0xcccd, v8
	v_lshrrev_b32_e32 v79, 18, v17
	s_delay_alu instid0(VALU_DEP_3) | instskip(NEXT) | instid1(VALU_DEP_2)
	v_mul_u32_u24_e32 v17, 0xcccd, v1
	v_mul_lo_u16 v9, v79, 5
	s_delay_alu instid0(VALU_DEP_2) | instskip(NEXT) | instid1(VALU_DEP_2)
	v_lshrrev_b32_e32 v80, 18, v17
	v_sub_nc_u16 v9, v36, v9
	s_delay_alu instid0(VALU_DEP_1) | instskip(NEXT) | instid1(VALU_DEP_3)
	v_and_b32_e32 v81, 0xffff, v9
	v_mul_lo_u16 v9, v80, 5
	s_delay_alu instid0(VALU_DEP_2) | instskip(NEXT) | instid1(VALU_DEP_2)
	v_lshlrev_b32_e32 v17, 5, v81
	v_sub_nc_u16 v9, v38, v9
	s_clause 0x1
	global_load_b128 v[44:47], v17, s[8:9]
	global_load_b128 v[48:51], v17, s[8:9] offset:16
	v_and_b32_e32 v82, 0xffff, v9
	s_delay_alu instid0(VALU_DEP_1)
	v_lshlrev_b32_e32 v9, 5, v82
	s_clause 0x1
	global_load_b128 v[52:55], v9, s[8:9]
	global_load_b128 v[56:59], v9, s[8:9] offset:16
	ds_load_b32 v83, v23
	ds_load_2addr_b32 v[68:69], v10 offset0:6 offset1:231
	ds_load_2addr_b32 v[70:71], v11 offset0:8 offset1:233
	;; [unrolled: 1-line block ×4, first 2 shown]
	ds_load_b32 v18, v22
	ds_load_2addr_b32 v[76:77], v14 offset0:10 offset1:235
	ds_load_b32 v17, v0
	ds_load_b32 v9, v2
	ds_load_b32 v84, v22 offset:12600
	global_wb scope:SCOPE_SE
	s_wait_loadcnt_dscnt 0x0
	s_barrier_signal -1
	s_barrier_wait -1
	global_inv scope:SCOPE_SE
	v_mul_f32_e32 v85, v83, v29
	v_dual_mul_f32 v29, v21, v29 :: v_dual_mul_f32 v86, v68, v31
	v_mul_f32_e32 v31, v32, v31
	v_mul_f32_e32 v87, v71, v41
	v_dual_mul_f32 v41, v61, v41 :: v_dual_mul_f32 v88, v72, v43
	v_mul_f32_e32 v43, v62, v43
	v_fma_f32 v21, v21, v28, -v85
	v_fmac_f32_e32 v29, v83, v28
	v_fma_f32 v32, v32, v30, -v86
	v_fmac_f32_e32 v31, v68, v30
	;; [unrolled: 2-line block ×4, first 2 shown]
	v_dual_mul_f32 v89, v74, v45 :: v_dual_lshlrev_b32 v82, 2, v82
	v_dual_mul_f32 v45, v64, v45 :: v_dual_mul_f32 v90, v69, v47
	v_dual_mul_f32 v47, v33, v47 :: v_dual_mul_f32 v28, v76, v49
	v_mul_f32_e32 v30, v66, v49
	v_lshlrev_b32_e32 v81, 2, v81
	v_mul_f32_e32 v49, v73, v51
	v_fma_f32 v33, v33, v46, -v90
	v_fma_f32 v28, v66, v48, -v28
	v_fmac_f32_e32 v30, v76, v48
	v_mul_f32_e32 v68, v75, v53
	v_mul_f32_e32 v42, v65, v53
	v_dual_mul_f32 v62, v77, v57 :: v_dual_mul_f32 v71, v84, v59
	v_dual_fmac_f32 v47, v69, v46 :: v_dual_mul_f32 v46, v34, v59
	v_mul_f32_e32 v51, v63, v51
	v_fma_f32 v59, v64, v44, -v89
	v_fma_f32 v48, v65, v52, -v68
	v_fmac_f32_e32 v42, v75, v52
	v_dual_fmac_f32 v46, v84, v58 :: v_dual_mul_f32 v57, v67, v57
	v_dual_add_f32 v52, v16, v21 :: v_dual_mul_f32 v53, v70, v55
	v_mul_f32_e32 v55, v60, v55
	v_dual_fmac_f32 v45, v74, v44 :: v_dual_add_f32 v66, v31, v41
	v_fma_f32 v44, v63, v50, -v49
	v_dual_fmac_f32 v51, v73, v50 :: v_dual_add_f32 v72, v20, v59
	v_fma_f32 v50, v67, v56, -v62
	v_dual_fmac_f32 v57, v77, v56 :: v_dual_sub_f32 v76, v59, v33
	v_sub_f32_e32 v56, v31, v41
	v_fma_f32 v49, v60, v54, -v53
	v_dual_add_f32 v53, v32, v61 :: v_dual_sub_f32 v68, v29, v31
	v_add_f32_e32 v62, v21, v40
	v_fma_f32 v34, v34, v58, -v71
	v_dual_sub_f32 v58, v21, v32 :: v_dual_fmac_f32 v55, v70, v54
	v_dual_sub_f32 v64, v61, v40 :: v_dual_sub_f32 v63, v32, v21
	v_dual_add_f32 v70, v29, v43 :: v_dual_add_f32 v65, v18, v29
	v_sub_f32_e32 v74, v45, v51
	v_sub_f32_e32 v54, v29, v43
	v_dual_sub_f32 v60, v40, v61 :: v_dual_sub_f32 v21, v21, v40
	v_sub_f32_e32 v67, v32, v61
	v_dual_sub_f32 v69, v43, v41 :: v_dual_add_f32 v32, v52, v32
	v_sub_f32_e32 v29, v31, v29
	v_sub_f32_e32 v71, v41, v43
	v_add_f32_e32 v73, v33, v28
	s_delay_alu instid0(VALU_DEP_4)
	v_dual_add_f32 v83, v59, v44 :: v_dual_add_f32 v32, v32, v61
	v_fma_f32 v52, -0.5, v53, v16
	v_dual_fmac_f32 v16, -0.5, v62 :: v_dual_add_f32 v31, v65, v31
	v_fma_f32 v66, -0.5, v66, v18
	v_dual_fmac_f32 v18, -0.5, v70 :: v_dual_sub_f32 v77, v44, v28
	v_add_f32_e32 v53, v58, v60
	v_add_f32_e32 v58, v63, v64
	v_dual_add_f32 v60, v68, v69 :: v_dual_add_f32 v29, v29, v71
	v_add_f32_e32 v62, v72, v33
	v_fma_f32 v63, -0.5, v73, v20
	v_dual_fmac_f32 v20, -0.5, v83 :: v_dual_sub_f32 v75, v47, v30
	v_dual_add_f32 v64, v76, v77 :: v_dual_fmamk_f32 v61, v54, 0x3f737871, v52
	v_add_f32_e32 v32, v32, v40
	v_dual_fmamk_f32 v65, v56, 0xbf737871, v16 :: v_dual_add_f32 v62, v62, v28
	v_dual_fmac_f32 v16, 0x3f737871, v56 :: v_dual_add_f32 v31, v31, v41
	v_dual_fmamk_f32 v41, v21, 0xbf737871, v66 :: v_dual_sub_f32 v40, v28, v44
	v_fmac_f32_e32 v66, 0x3f737871, v21
	v_dual_fmamk_f32 v68, v67, 0x3f737871, v18 :: v_dual_fmamk_f32 v69, v74, 0x3f737871, v63
	v_fmac_f32_e32 v18, 0xbf737871, v67
	v_fmac_f32_e32 v52, 0xbf737871, v54
	v_dual_fmac_f32 v63, 0xbf737871, v74 :: v_dual_fmamk_f32 v70, v75, 0xbf737871, v20
	v_dual_fmac_f32 v61, 0x3f167918, v56 :: v_dual_fmac_f32 v66, 0x3f167918, v67
	s_delay_alu instid0(VALU_DEP_4) | instskip(SKIP_4) | instid1(VALU_DEP_3)
	v_dual_fmac_f32 v65, 0x3f167918, v54 :: v_dual_fmac_f32 v18, 0x3f167918, v21
	v_dual_fmac_f32 v16, 0xbf167918, v54 :: v_dual_fmac_f32 v41, 0xbf167918, v67
	v_dual_fmac_f32 v68, 0xbf167918, v21 :: v_dual_add_f32 v21, v62, v44
	v_dual_fmac_f32 v52, 0xbf167918, v56 :: v_dual_add_f32 v31, v31, v43
	v_dual_fmac_f32 v69, 0x3f167918, v75 :: v_dual_fmac_f32 v70, 0x3f167918, v74
	v_dual_fmac_f32 v41, 0x3e9e377a, v60 :: v_dual_fmac_f32 v68, 0x3e9e377a, v29
	v_fmac_f32_e32 v66, 0x3e9e377a, v60
	s_delay_alu instid0(VALU_DEP_3) | instskip(SKIP_4) | instid1(VALU_DEP_3)
	v_dual_fmac_f32 v18, 0x3e9e377a, v29 :: v_dual_fmac_f32 v69, 0x3e9e377a, v64
	v_sub_f32_e32 v29, v33, v59
	v_dual_add_f32 v43, v17, v45 :: v_dual_fmac_f32 v20, 0x3f737871, v75
	v_dual_fmac_f32 v61, 0x3e9e377a, v53 :: v_dual_fmac_f32 v16, 0x3e9e377a, v58
	v_dual_fmac_f32 v52, 0x3e9e377a, v53 :: v_dual_fmac_f32 v65, 0x3e9e377a, v58
	v_dual_add_f32 v29, v29, v40 :: v_dual_add_f32 v40, v43, v47
	v_add_f32_e32 v53, v47, v30
	v_dual_fmac_f32 v63, 0xbf167918, v75 :: v_dual_sub_f32 v44, v59, v44
	s_delay_alu instid0(VALU_DEP_3) | instskip(SKIP_1) | instid1(VALU_DEP_4)
	v_fmac_f32_e32 v70, 0x3e9e377a, v29
	v_add_f32_e32 v54, v45, v51
	v_fma_f32 v43, -0.5, v53, v17
	s_delay_alu instid0(VALU_DEP_4) | instskip(SKIP_1) | instid1(VALU_DEP_4)
	v_dual_fmac_f32 v63, 0x3e9e377a, v64 :: v_dual_add_f32 v40, v40, v30
	v_fmac_f32_e32 v20, 0xbf167918, v74
	v_dual_sub_f32 v28, v33, v28 :: v_dual_fmac_f32 v17, -0.5, v54
	s_delay_alu instid0(VALU_DEP_4) | instskip(SKIP_1) | instid1(VALU_DEP_4)
	v_fmamk_f32 v53, v44, 0xbf737871, v43
	v_dual_sub_f32 v33, v45, v47 :: v_dual_sub_f32 v56, v51, v30
	v_dual_fmac_f32 v20, 0x3e9e377a, v29 :: v_dual_add_f32 v29, v40, v51
	s_delay_alu instid0(VALU_DEP_3) | instskip(NEXT) | instid1(VALU_DEP_3)
	v_dual_fmac_f32 v53, 0xbf167918, v28 :: v_dual_sub_f32 v30, v30, v51
	v_dual_add_f32 v33, v33, v56 :: v_dual_fmamk_f32 v40, v28, 0x3f737871, v17
	v_sub_f32_e32 v45, v47, v45
	v_fmac_f32_e32 v43, 0x3f737871, v44
	v_fmac_f32_e32 v17, 0xbf737871, v28
	s_delay_alu instid0(VALU_DEP_4) | instskip(SKIP_1) | instid1(VALU_DEP_4)
	v_fmac_f32_e32 v53, 0x3e9e377a, v33
	v_dual_add_f32 v47, v49, v50 :: v_dual_fmac_f32 v40, 0xbf167918, v44
	v_dual_add_f32 v30, v45, v30 :: v_dual_fmac_f32 v43, 0x3f167918, v28
	v_add_f32_e32 v28, v19, v48
	v_dual_fmac_f32 v17, 0x3f167918, v44 :: v_dual_sub_f32 v54, v34, v50
	v_sub_f32_e32 v44, v55, v57
	v_add_f32_e32 v56, v48, v34
	v_fma_f32 v45, -0.5, v47, v19
	v_add_f32_e32 v28, v28, v49
	v_dual_sub_f32 v58, v50, v34 :: v_dual_fmac_f32 v43, 0x3e9e377a, v33
	s_delay_alu instid0(VALU_DEP_4)
	v_dual_fmac_f32 v40, 0x3e9e377a, v30 :: v_dual_fmac_f32 v19, -0.5, v56
	v_sub_f32_e32 v47, v42, v46
	v_dual_sub_f32 v51, v48, v49 :: v_dual_sub_f32 v56, v49, v48
	v_add_f32_e32 v28, v28, v50
	v_fmac_f32_e32 v17, 0x3e9e377a, v30
	v_fmamk_f32 v30, v44, 0xbf737871, v19
	v_fmamk_f32 v33, v47, 0x3f737871, v45
	s_delay_alu instid0(VALU_DEP_4) | instskip(NEXT) | instid1(VALU_DEP_3)
	v_dual_fmac_f32 v45, 0xbf737871, v47 :: v_dual_add_f32 v28, v28, v34
	v_dual_add_f32 v51, v51, v54 :: v_dual_fmac_f32 v30, 0x3f167918, v47
	s_delay_alu instid0(VALU_DEP_3) | instskip(NEXT) | instid1(VALU_DEP_3)
	v_fmac_f32_e32 v33, 0x3f167918, v44
	v_dual_fmac_f32 v45, 0xbf167918, v44 :: v_dual_add_f32 v54, v55, v57
	v_dual_fmac_f32 v19, 0x3f737871, v44 :: v_dual_sub_f32 v34, v48, v34
	s_delay_alu instid0(VALU_DEP_3) | instskip(NEXT) | instid1(VALU_DEP_3)
	v_fmac_f32_e32 v33, 0x3e9e377a, v51
	v_dual_fmac_f32 v45, 0x3e9e377a, v51 :: v_dual_add_f32 v48, v56, v58
	v_add_f32_e32 v51, v9, v42
	v_dual_sub_f32 v49, v49, v50 :: v_dual_sub_f32 v50, v46, v57
	s_delay_alu instid0(VALU_DEP_3) | instskip(NEXT) | instid1(VALU_DEP_3)
	v_fmac_f32_e32 v30, 0x3e9e377a, v48
	v_add_f32_e32 v44, v51, v55
	v_fma_f32 v51, -0.5, v54, v9
	v_add_f32_e32 v54, v42, v46
	s_delay_alu instid0(VALU_DEP_3) | instskip(NEXT) | instid1(VALU_DEP_3)
	v_dual_add_f32 v44, v44, v57 :: v_dual_fmac_f32 v19, 0xbf167918, v47
	v_fmamk_f32 v47, v34, 0xbf737871, v51
	s_delay_alu instid0(VALU_DEP_3) | instskip(SKIP_1) | instid1(VALU_DEP_4)
	v_fmac_f32_e32 v9, -0.5, v54
	v_fmac_f32_e32 v51, 0x3f737871, v34
	v_dual_add_f32 v44, v44, v46 :: v_dual_fmac_f32 v19, 0x3e9e377a, v48
	v_sub_f32_e32 v48, v42, v55
	v_dual_sub_f32 v42, v55, v42 :: v_dual_fmac_f32 v47, 0xbf167918, v49
	v_sub_f32_e32 v46, v57, v46
	v_fmamk_f32 v54, v49, 0x3f737871, v9
	s_delay_alu instid0(VALU_DEP_4) | instskip(NEXT) | instid1(VALU_DEP_3)
	v_dual_add_f32 v48, v48, v50 :: v_dual_fmac_f32 v9, 0xbf737871, v49
	v_add_f32_e32 v42, v42, v46
	v_and_b32_e32 v46, 0xffff, v78
	s_delay_alu instid0(VALU_DEP_4) | instskip(NEXT) | instid1(VALU_DEP_4)
	v_fmac_f32_e32 v54, 0xbf167918, v34
	v_fmac_f32_e32 v9, 0x3f167918, v34
	;; [unrolled: 1-line block ×3, first 2 shown]
	s_delay_alu instid0(VALU_DEP_4) | instskip(NEXT) | instid1(VALU_DEP_4)
	v_mul_u32_u24_e32 v34, 0x64, v46
	v_fmac_f32_e32 v54, 0x3e9e377a, v42
	s_delay_alu instid0(VALU_DEP_4) | instskip(SKIP_1) | instid1(VALU_DEP_4)
	v_fmac_f32_e32 v9, 0x3e9e377a, v42
	v_mul_u32_u24_e32 v42, 0x64, v79
	v_add3_u32 v34, 0, v34, v3
	v_mul_u32_u24_e32 v3, 0x64, v80
	ds_store_2addr_b32 v34, v32, v61 offset1:5
	ds_store_2addr_b32 v34, v65, v16 offset0:10 offset1:15
	v_add3_u32 v42, 0, v42, v81
	v_add3_u32 v46, 0, v3, v82
	ds_store_b32 v34, v52 offset:80
	ds_store_2addr_b32 v42, v21, v69 offset1:5
	ds_store_2addr_b32 v42, v70, v20 offset0:10 offset1:15
	ds_store_b32 v42, v63 offset:80
	ds_store_2addr_b32 v46, v28, v33 offset1:5
	ds_store_2addr_b32 v46, v30, v19 offset0:10 offset1:15
	ds_store_b32 v46, v45 offset:80
	v_mul_u32_u24_e32 v28, 0x47af, v8
	v_mul_u32_u24_e32 v30, 0x47af, v1
	global_wb scope:SCOPE_SE
	s_wait_dscnt 0x0
	s_barrier_signal -1
	s_barrier_wait -1
	v_lshrrev_b32_e32 v28, 16, v28
	global_inv scope:SCOPE_SE
	ds_load_b32 v3, v22
	ds_load_2addr_b32 v[20:21], v10 offset0:6 offset1:231
	ds_load_2addr_b32 v[32:33], v11 offset0:8 offset1:233
	ds_load_2addr_b32 v[60:61], v12 offset0:12 offset1:237
	ds_load_2addr_b32 v[62:63], v13 offset0:4 offset1:229
	ds_load_2addr_b32 v[64:65], v14 offset0:10 offset1:235
	ds_load_b32 v19, v0
	ds_load_b32 v16, v2
	;; [unrolled: 1-line block ×3, first 2 shown]
	ds_load_b32 v70, v22 offset:12600
	global_wb scope:SCOPE_SE
	s_wait_dscnt 0x0
	s_barrier_signal -1
	s_barrier_wait -1
	global_inv scope:SCOPE_SE
	v_sub_nc_u16 v45, v36, v28
	ds_store_2addr_b32 v34, v31, v41 offset1:5
	v_lshrrev_b32_e32 v30, 16, v30
	ds_store_2addr_b32 v34, v68, v18 offset0:10 offset1:15
	ds_store_b32 v34, v66 offset:80
	v_lshrrev_b16 v34, 10, v15
	v_lshrrev_b16 v18, 1, v45
	v_sub_nc_u16 v15, v38, v30
	ds_store_2addr_b32 v42, v40, v17 offset0:10 offset1:15
	ds_store_2addr_b32 v42, v29, v53 offset1:5
	v_mul_lo_u16 v17, v34, 25
	v_add_nc_u16 v18, v18, v28
	v_lshrrev_b16 v15, 1, v15
	ds_store_b32 v42, v43 offset:80
	ds_store_2addr_b32 v46, v44, v47 offset1:5
	v_sub_nc_u16 v17, v35, v17
	v_lshrrev_b16 v68, 4, v18
	v_add_nc_u16 v15, v15, v30
	v_mul_u32_u24_e32 v8, 0x625, v8
	v_mul_u32_u24_e32 v1, 0x625, v1
	v_and_b32_e32 v71, 0xff, v17
	s_delay_alu instid0(VALU_DEP_4) | instskip(NEXT) | instid1(VALU_DEP_4)
	v_lshrrev_b16 v72, 4, v15
	v_lshrrev_b32_e32 v8, 16, v8
	s_delay_alu instid0(VALU_DEP_4) | instskip(NEXT) | instid1(VALU_DEP_4)
	v_lshrrev_b32_e32 v1, 16, v1
	v_lshlrev_b32_e32 v15, 5, v71
	v_lshlrev_b32_e32 v71, 2, v71
	ds_store_2addr_b32 v46, v54, v9 offset0:10 offset1:15
	v_mul_lo_u16 v9, v68, 25
	v_mul_lo_u16 v17, v72, 25
	s_delay_alu instid0(VALU_DEP_2) | instskip(NEXT) | instid1(VALU_DEP_2)
	v_sub_nc_u16 v9, v36, v9
	v_sub_nc_u16 v17, v38, v17
	s_delay_alu instid0(VALU_DEP_2) | instskip(NEXT) | instid1(VALU_DEP_2)
	v_and_b32_e32 v9, 0xffff, v9
	v_and_b32_e32 v73, 0xffff, v17
	s_delay_alu instid0(VALU_DEP_2) | instskip(SKIP_1) | instid1(VALU_DEP_1)
	v_lshlrev_b32_e32 v18, 5, v9
	v_fmac_f32_e32 v51, 0x3f167918, v49
	v_fmac_f32_e32 v51, 0x3e9e377a, v48
	ds_store_b32 v46, v51 offset:80
	global_wb scope:SCOPE_SE
	s_wait_dscnt 0x0
	s_barrier_signal -1
	s_barrier_wait -1
	global_inv scope:SCOPE_SE
	s_clause 0x1
	global_load_b128 v[28:31], v15, s[8:9] offset:160
	global_load_b128 v[40:43], v15, s[8:9] offset:176
	v_lshlrev_b32_e32 v15, 5, v73
	s_clause 0x3
	global_load_b128 v[44:47], v18, s[8:9] offset:160
	global_load_b128 v[48:51], v18, s[8:9] offset:176
	;; [unrolled: 1-line block ×4, first 2 shown]
	ds_load_b32 v74, v23
	ds_load_2addr_b32 v[17:18], v10 offset0:6 offset1:231
	ds_load_2addr_b32 v[10:11], v11 offset0:8 offset1:233
	ds_load_2addr_b32 v[66:67], v12 offset0:12 offset1:237
	ds_load_2addr_b32 v[12:13], v13 offset0:4 offset1:229
	ds_load_2addr_b32 v[14:15], v14 offset0:10 offset1:235
	s_wait_loadcnt_dscnt 0x504
	v_mul_f32_e32 v80, v17, v31
	v_mul_f32_e32 v31, v20, v31
	s_wait_loadcnt_dscnt 0x402
	v_mul_f32_e32 v82, v66, v43
	v_mul_f32_e32 v43, v60, v43
	s_wait_loadcnt 0x3
	v_mul_f32_e32 v84, v18, v47
	s_wait_loadcnt 0x2
	v_mul_f32_e32 v86, v67, v51
	v_fma_f32 v20, v20, v30, -v80
	v_mul_f32_e32 v47, v21, v47
	v_fmac_f32_e32 v31, v17, v30
	s_wait_dscnt 0x0
	v_mul_f32_e32 v85, v14, v49
	v_fmac_f32_e32 v43, v66, v42
	v_mul_f32_e32 v49, v64, v49
	v_mul_f32_e32 v81, v11, v41
	v_fmac_f32_e32 v47, v18, v46
	v_fma_f32 v18, v64, v48, -v85
	v_mul_f32_e32 v79, v74, v29
	v_fmac_f32_e32 v49, v14, v48
	v_fma_f32 v14, v61, v50, -v86
	v_mul_f32_e32 v41, v33, v41
	s_wait_loadcnt 0x0
	v_mul_f32_e32 v30, v15, v57
	s_delay_alu instid0(VALU_DEP_2) | instskip(SKIP_3) | instid1(VALU_DEP_2)
	v_fmac_f32_e32 v41, v11, v40
	v_fma_f32 v11, v60, v42, -v82
	v_mul_f32_e32 v83, v12, v45
	v_mul_f32_e32 v51, v61, v51
	v_fma_f32 v42, v62, v44, -v83
	v_mul_f32_e32 v29, v69, v29
	v_fma_f32 v69, v69, v28, -v79
	s_delay_alu instid0(VALU_DEP_4) | instskip(NEXT) | instid1(VALU_DEP_4)
	v_fmac_f32_e32 v51, v67, v50
	v_dual_mul_f32 v45, v62, v45 :: v_dual_add_f32 v64, v19, v42
	v_mul_f32_e32 v87, v13, v53
	s_delay_alu instid0(VALU_DEP_4)
	v_add_f32_e32 v50, v69, v11
	v_fma_f32 v33, v33, v40, -v81
	v_fmac_f32_e32 v29, v74, v28
	v_mul_f32_e32 v40, v70, v59
	v_mul_f32_e32 v28, v10, v55
	v_add_f32_e32 v74, v42, v14
	v_sub_f32_e32 v48, v11, v33
	v_lshlrev_b32_e32 v75, 2, v9
	ds_load_b32 v76, v22
	ds_load_b32 v77, v0
	;; [unrolled: 1-line block ×3, first 2 shown]
	ds_load_b32 v78, v22 offset:12600
	v_mul_f32_e32 v17, v32, v55
	v_mul_f32_e32 v55, v65, v57
	global_wb scope:SCOPE_SE
	s_wait_dscnt 0x0
	s_barrier_signal -1
	s_barrier_wait -1
	global_inv scope:SCOPE_SE
	v_fmac_f32_e32 v55, v15, v56
	v_mul_f32_e32 v57, v78, v59
	v_dual_fmac_f32 v40, v78, v58 :: v_dual_lshlrev_b32 v73, 2, v73
	s_delay_alu instid0(VALU_DEP_2)
	v_fma_f32 v15, v70, v58, -v57
	v_dual_sub_f32 v58, v69, v11 :: v_dual_fmac_f32 v45, v12, v44
	v_fma_f32 v12, v21, v46, -v84
	v_fma_f32 v21, v63, v52, -v87
	v_sub_f32_e32 v46, v69, v20
	v_sub_f32_e32 v70, v14, v18
	s_delay_alu instid0(VALU_DEP_4) | instskip(SKIP_3) | instid1(VALU_DEP_3)
	v_sub_f32_e32 v82, v12, v18
	v_dual_sub_f32 v86, v49, v51 :: v_dual_mul_f32 v53, v63, v53
	v_sub_f32_e32 v66, v45, v51
	v_add_f32_e32 v80, v77, v45
	v_dual_sub_f32 v78, v12, v42 :: v_dual_fmac_f32 v53, v13, v52
	v_fma_f32 v13, v32, v54, -v28
	v_add_f32_e32 v28, v3, v69
	v_sub_f32_e32 v52, v20, v69
	v_dual_sub_f32 v60, v29, v31 :: v_dual_fmac_f32 v17, v10, v54
	v_fma_f32 v10, v65, v56, -v30
	v_add_f32_e32 v30, v20, v33
	v_dual_sub_f32 v54, v33, v11 :: v_dual_sub_f32 v69, v42, v12
	v_dual_sub_f32 v59, v20, v33 :: v_dual_sub_f32 v42, v42, v14
	v_add_f32_e32 v20, v28, v20
	s_delay_alu instid0(VALU_DEP_4)
	v_fma_f32 v28, -0.5, v30, v3
	v_add_f32_e32 v30, v46, v48
	v_sub_f32_e32 v84, v51, v49
	v_dual_add_f32 v62, v29, v43 :: v_dual_add_f32 v57, v31, v41
	v_sub_f32_e32 v32, v29, v43
	v_add_f32_e32 v56, v76, v29
	v_add_f32_e32 v65, v12, v18
	;; [unrolled: 1-line block ×3, first 2 shown]
	v_fma_f32 v48, -0.5, v57, v76
	v_fmac_f32_e32 v76, -0.5, v62
	v_add_f32_e32 v20, v20, v33
	v_dual_add_f32 v54, v69, v70 :: v_dual_add_f32 v81, v47, v49
	v_sub_f32_e32 v44, v31, v41
	v_dual_sub_f32 v61, v43, v41 :: v_dual_add_f32 v12, v64, v12
	v_sub_f32_e32 v67, v47, v49
	v_dual_sub_f32 v79, v18, v14 :: v_dual_fmamk_f32 v64, v59, 0x3f737871, v76
	s_delay_alu instid0(VALU_DEP_3)
	v_dual_sub_f32 v83, v45, v47 :: v_dual_add_f32 v12, v12, v18
	v_dual_add_f32 v88, v13, v10 :: v_dual_fmamk_f32 v33, v32, 0x3f737871, v28
	v_fmac_f32_e32 v28, 0xbf737871, v32
	v_fma_f32 v52, -0.5, v65, v19
	v_add_f32_e32 v85, v45, v51
	v_dual_sub_f32 v45, v47, v45 :: v_dual_fmac_f32 v76, 0xbf737871, v59
	v_add_f32_e32 v47, v80, v47
	v_fma_f32 v62, -0.5, v81, v77
	v_sub_f32_e32 v29, v31, v29
	v_add_f32_e32 v87, v16, v21
	v_dual_fmac_f32 v3, -0.5, v50 :: v_dual_fmac_f32 v28, 0xbf167918, v44
	v_add_f32_e32 v50, v60, v61
	v_fma_f32 v61, -0.5, v88, v16
	v_dual_add_f32 v31, v56, v31 :: v_dual_fmac_f32 v76, 0x3f167918, v58
	s_delay_alu instid0(VALU_DEP_4) | instskip(SKIP_4) | instid1(VALU_DEP_3)
	v_dual_add_f32 v47, v47, v49 :: v_dual_fmac_f32 v28, 0x3e9e377a, v30
	v_fmamk_f32 v49, v42, 0xbf737871, v62
	v_dual_fmac_f32 v62, 0x3f737871, v42 :: v_dual_sub_f32 v63, v41, v43
	v_add_f32_e32 v60, v87, v13
	v_dual_add_f32 v56, v78, v79 :: v_dual_add_f32 v31, v31, v41
	v_dual_fmac_f32 v62, 0x3f167918, v82 :: v_dual_sub_f32 v89, v53, v40
	s_delay_alu instid0(VALU_DEP_4)
	v_dual_add_f32 v29, v29, v63 :: v_dual_fmac_f32 v64, 0xbf167918, v58
	v_fmamk_f32 v41, v58, 0xbf737871, v48
	v_fmac_f32_e32 v48, 0x3f737871, v58
	v_fmac_f32_e32 v19, -0.5, v74
	v_dual_add_f32 v57, v83, v84 :: v_dual_add_f32 v12, v12, v14
	v_add_f32_e32 v14, v47, v51
	s_delay_alu instid0(VALU_DEP_4)
	v_fmac_f32_e32 v48, 0x3f167918, v59
	v_add_f32_e32 v11, v20, v11
	v_add_f32_e32 v20, v31, v43
	v_fmamk_f32 v70, v89, 0x3f737871, v61
	v_fmac_f32_e32 v64, 0x3e9e377a, v29
	v_dual_fmac_f32 v76, 0x3e9e377a, v29 :: v_dual_sub_f32 v29, v17, v55
	v_fmac_f32_e32 v33, 0x3f167918, v44
	v_fmamk_f32 v63, v44, 0xbf737871, v3
	v_fmac_f32_e32 v3, 0x3f737871, v44
	s_delay_alu instid0(VALU_DEP_4) | instskip(NEXT) | instid1(VALU_DEP_4)
	v_dual_sub_f32 v31, v15, v10 :: v_dual_fmac_f32 v70, 0x3f167918, v29
	v_dual_fmac_f32 v33, 0x3e9e377a, v30 :: v_dual_fmac_f32 v62, 0x3e9e377a, v57
	v_sub_f32_e32 v30, v21, v13
	v_dual_fmamk_f32 v18, v66, 0x3f737871, v52 :: v_dual_fmac_f32 v77, -0.5, v85
	v_fmamk_f32 v65, v67, 0xbf737871, v19
	v_dual_fmac_f32 v63, 0x3f167918, v32 :: v_dual_sub_f32 v44, v10, v15
	v_fmac_f32_e32 v3, 0xbf167918, v32
	v_dual_fmac_f32 v61, 0xbf737871, v89 :: v_dual_add_f32 v32, v21, v15
	v_add_f32_e32 v30, v30, v31
	v_fmac_f32_e32 v19, 0x3f737871, v67
	v_fmac_f32_e32 v18, 0x3f167918, v67
	s_delay_alu instid0(VALU_DEP_4) | instskip(NEXT) | instid1(VALU_DEP_4)
	v_dual_fmamk_f32 v69, v82, 0x3f737871, v77 :: v_dual_fmac_f32 v16, -0.5, v32
	v_fmac_f32_e32 v70, 0x3e9e377a, v30
	v_fmac_f32_e32 v77, 0xbf737871, v82
	;; [unrolled: 1-line block ×3, first 2 shown]
	s_delay_alu instid0(VALU_DEP_4) | instskip(SKIP_2) | instid1(VALU_DEP_4)
	v_dual_fmac_f32 v69, 0xbf167918, v42 :: v_dual_add_f32 v32, v9, v53
	v_fmac_f32_e32 v19, 0xbf167918, v66
	v_fmac_f32_e32 v52, 0xbf737871, v66
	;; [unrolled: 1-line block ×3, first 2 shown]
	v_fmamk_f32 v30, v29, 0xbf737871, v16
	v_fmac_f32_e32 v77, 0x3f167918, v42
	v_dual_add_f32 v42, v60, v10 :: v_dual_fmac_f32 v41, 0xbf167918, v59
	v_fmac_f32_e32 v16, 0x3f737871, v29
	v_dual_sub_f32 v10, v13, v10 :: v_dual_add_f32 v29, v32, v17
	s_delay_alu instid0(VALU_DEP_3) | instskip(SKIP_4) | instid1(VALU_DEP_4)
	v_add_f32_e32 v31, v42, v15
	v_add_f32_e32 v42, v17, v55
	;; [unrolled: 1-line block ×3, first 2 shown]
	v_sub_f32_e32 v15, v21, v15
	v_dual_fmac_f32 v65, 0x3f167918, v66 :: v_dual_fmac_f32 v30, 0x3f167918, v89
	v_fma_f32 v42, -0.5, v42, v9
	v_sub_f32_e32 v43, v13, v21
	v_dual_fmac_f32 v9, -0.5, v32 :: v_dual_fmac_f32 v16, 0xbf167918, v89
	v_sub_f32_e32 v13, v53, v17
	v_sub_f32_e32 v17, v17, v53
	s_delay_alu instid0(VALU_DEP_3)
	v_dual_add_f32 v21, v43, v44 :: v_dual_fmamk_f32 v44, v10, 0x3f737871, v9
	v_add_f32_e32 v29, v29, v55
	v_fmamk_f32 v43, v15, 0xbf737871, v42
	v_fmac_f32_e32 v42, 0x3f737871, v15
	v_dual_sub_f32 v32, v55, v40 :: v_dual_fmac_f32 v9, 0xbf737871, v10
	v_dual_fmac_f32 v63, 0x3e9e377a, v46 :: v_dual_fmac_f32 v30, 0x3e9e377a, v21
	v_dual_fmac_f32 v3, 0x3e9e377a, v46 :: v_dual_fmac_f32 v16, 0x3e9e377a, v21
	v_add_f32_e32 v21, v29, v40
	v_sub_f32_e32 v29, v40, v55
	v_dual_add_f32 v45, v45, v86 :: v_dual_fmac_f32 v52, 0xbf167918, v67
	v_dual_fmac_f32 v49, 0xbf167918, v82 :: v_dual_fmac_f32 v44, 0xbf167918, v15
	v_fmac_f32_e32 v43, 0xbf167918, v10
	v_fmac_f32_e32 v42, 0x3f167918, v10
	v_dual_add_f32 v10, v17, v32 :: v_dual_fmac_f32 v9, 0x3f167918, v15
	v_add_f32_e32 v13, v13, v29
	v_and_b32_e32 v15, 0xffff, v34
	s_delay_alu instid0(VALU_DEP_3) | instskip(NEXT) | instid1(VALU_DEP_4)
	v_dual_fmac_f32 v77, 0x3e9e377a, v45 :: v_dual_fmac_f32 v44, 0x3e9e377a, v10
	v_fmac_f32_e32 v9, 0x3e9e377a, v10
	v_and_b32_e32 v10, 0xffff, v68
	v_dual_fmac_f32 v41, 0x3e9e377a, v50 :: v_dual_fmac_f32 v42, 0x3e9e377a, v13
	v_fmac_f32_e32 v43, 0x3e9e377a, v13
	v_mul_u32_u24_e32 v13, 0x1f4, v15
	v_and_b32_e32 v15, 0xffff, v72
	v_mul_u32_u24_e32 v10, 0x1f4, v10
	v_dual_fmac_f32 v18, 0x3e9e377a, v54 :: v_dual_fmac_f32 v49, 0x3e9e377a, v57
	s_delay_alu instid0(VALU_DEP_4) | instskip(NEXT) | instid1(VALU_DEP_4)
	v_add3_u32 v17, 0, v13, v71
	v_mul_u32_u24_e32 v13, 0x1f4, v15
	s_delay_alu instid0(VALU_DEP_4)
	v_add3_u32 v15, 0, v10, v75
	v_fmac_f32_e32 v65, 0x3e9e377a, v56
	v_dual_fmac_f32 v19, 0x3e9e377a, v56 :: v_dual_fmac_f32 v52, 0x3e9e377a, v54
	v_fmac_f32_e32 v69, 0x3e9e377a, v45
	v_add3_u32 v34, 0, v13, v73
	v_fmac_f32_e32 v48, 0x3e9e377a, v50
	ds_store_2addr_b32 v17, v11, v33 offset1:25
	ds_store_2addr_b32 v17, v63, v3 offset0:50 offset1:75
	ds_store_b32 v17, v28 offset:400
	ds_store_2addr_b32 v15, v12, v18 offset1:25
	ds_store_2addr_b32 v15, v65, v19 offset0:50 offset1:75
	ds_store_b32 v15, v52 offset:400
	;; [unrolled: 3-line block ×3, first 2 shown]
	v_add_nc_u32_e32 v28, 0x1180, v22
	v_add_nc_u32_e32 v33, 0x1f80, v22
	;; [unrolled: 1-line block ×5, first 2 shown]
	v_lshl_add_u32 v31, v39, 2, 0
	global_wb scope:SCOPE_SE
	s_wait_dscnt 0x0
	s_barrier_signal -1
	s_barrier_wait -1
	global_inv scope:SCOPE_SE
	ds_load_2addr_b32 v[52:53], v28 offset0:5 offset1:230
	ds_load_2addr_b32 v[54:55], v33 offset0:9 offset1:234
	;; [unrolled: 1-line block ×3, first 2 shown]
	ds_load_b32 v3, v2
	ds_load_2addr_b32 v[58:59], v30 offset0:7 offset1:232
	ds_load_b32 v12, v22
	ds_load_b32 v10, v23
	ds_load_2addr_b32 v[60:61], v32 offset0:13 offset1:238
	ds_load_b32 v13, v0
	ds_load_b32 v11, v31
	global_wb scope:SCOPE_SE
	s_wait_dscnt 0x0
	s_barrier_signal -1
	s_barrier_wait -1
	global_inv scope:SCOPE_SE
	ds_store_2addr_b32 v17, v20, v41 offset1:25
	ds_store_2addr_b32 v17, v64, v76 offset0:50 offset1:75
	ds_store_b32 v17, v48 offset:400
	ds_store_2addr_b32 v15, v14, v49 offset1:25
	ds_store_2addr_b32 v15, v69, v77 offset0:50 offset1:75
	ds_store_b32 v15, v62 offset:400
	ds_store_2addr_b32 v34, v21, v43 offset1:25
	ds_store_2addr_b32 v34, v44, v9 offset0:50 offset1:75
	ds_store_b32 v34, v42 offset:400
	v_and_b32_e32 v34, 0xffff, v37
	v_sub_nc_u16 v9, v36, v8
	v_and_b32_e32 v72, 0xffff, v39
	v_sub_nc_u16 v15, v38, v1
	v_add_nc_u32_e32 v17, 0xffffff83, v35
	v_mul_u32_u24_e32 v14, 0x625, v34
	v_lshrrev_b16 v9, 1, v9
	v_mul_u32_u24_e32 v16, 0x625, v72
	global_wb scope:SCOPE_SE
	s_wait_dscnt 0x0
	s_wait_alu 0xf1ff
	v_cndmask_b32_e64 v62, v17, v35, s0
	v_lshrrev_b32_e32 v14, 16, v14
	v_add_nc_u16 v8, v9, v8
	v_lshrrev_b16 v9, 1, v15
	v_lshrrev_b32_e32 v16, 16, v16
	s_barrier_signal -1
	v_sub_nc_u16 v15, v37, v14
	v_lshrrev_b16 v63, 6, v8
	v_add_nc_u16 v1, v9, v1
	v_lshlrev_b32_e32 v8, 1, v62
	s_barrier_wait -1
	v_lshrrev_b16 v9, 1, v15
	v_sub_nc_u16 v15, v39, v16
	v_mul_lo_u16 v17, 0x7d, v63
	v_lshrrev_b16 v1, 6, v1
	global_inv scope:SCOPE_SE
	v_add_nc_u16 v14, v9, v14
	v_lshrrev_b16 v15, 1, v15
	v_mov_b32_e32 v9, 0
	v_sub_nc_u16 v17, v36, v17
	v_mul_lo_u16 v18, 0x7d, v1
	v_lshrrev_b16 v64, 6, v14
	v_add_nc_u16 v16, v15, v16
	v_lshlrev_b64_e32 v[14:15], 3, v[8:9]
	v_and_b32_e32 v8, 0xffff, v17
	v_sub_nc_u16 v17, v38, v18
	v_mul_lo_u16 v18, 0x7d, v64
	v_lshrrev_b16 v65, 6, v16
	v_lshlrev_b32_e32 v62, 2, v62
	v_add_co_u32 v14, s0, s8, v14
	v_and_b32_e32 v66, 0xffff, v17
	s_wait_alu 0xf1ff
	v_add_co_ci_u32_e64 v15, s0, s9, v15, s0
	v_cmp_lt_u32_e64 s0, 0x7c, v35
	v_mul_lo_u16 v40, 0x7d, v65
	v_and_b32_e32 v63, 0xffff, v63
	global_load_b128 v[14:17], v[14:15], off offset:960
	v_and_b32_e32 v64, 0xffff, v64
	s_wait_alu 0xf1ff
	v_cndmask_b32_e64 v69, 0, 0x5dc, s0
	v_and_b32_e32 v65, 0xffff, v65
	v_sub_nc_u16 v18, v37, v18
	v_lshlrev_b32_e32 v41, 4, v66
	v_mul_u32_u24_e32 v70, 0x5dc, v64
	v_add3_u32 v73, 0, v69, v62
	v_mul_u32_u24_e32 v69, 0x5dc, v63
	v_mul_u32_u24_e32 v71, 0x5dc, v65
	ds_load_2addr_b32 v[62:63], v28 offset0:5 offset1:230
	ds_load_2addr_b32 v[64:65], v33 offset0:9 offset1:234
	v_and_b32_e32 v67, 0xffff, v18
	v_sub_nc_u16 v44, v39, v40
	v_lshlrev_b32_e32 v66, 2, v66
	v_mul_u32_u24_e32 v34, 0x5d87, v34
	v_cmp_gt_u32_e64 s0, 0x96, v35
	v_lshlrev_b32_e32 v45, 4, v67
	v_and_b32_e32 v68, 0xffff, v44
	v_lshlrev_b32_e32 v74, 2, v67
	v_lshrrev_b32_e32 v34, 16, v34
	s_clause 0x1
	global_load_b128 v[40:43], v41, s[8:9] offset:960
	global_load_b128 v[44:47], v45, s[8:9] offset:960
	v_lshlrev_b32_e32 v48, 4, v68
	v_lshlrev_b32_e32 v75, 2, v68
	v_add3_u32 v74, 0, v70, v74
	global_load_b128 v[48:51], v48, s[8:9] offset:960
	v_add3_u32 v75, 0, v71, v75
	s_wait_loadcnt_dscnt 0x301
	v_mul_f32_e32 v81, v62, v15
	s_wait_dscnt 0x0
	v_dual_mul_f32 v15, v52, v15 :: v_dual_mul_f32 v82, v65, v17
	s_delay_alu instid0(VALU_DEP_2) | instskip(NEXT) | instid1(VALU_DEP_2)
	v_fma_f32 v52, v52, v14, -v81
	v_fmac_f32_e32 v15, v62, v14
	s_delay_alu instid0(VALU_DEP_3)
	v_fma_f32 v14, v55, v16, -v82
	v_lshlrev_b32_e32 v19, 4, v8
	v_lshlrev_b32_e32 v8, 2, v8
	global_load_b128 v[18:21], v19, s[8:9] offset:960
	v_add3_u32 v8, 0, v69, v8
	ds_load_2addr_b32 v[68:69], v30 offset0:7 offset1:232
	s_wait_loadcnt_dscnt 0x300
	v_mul_f32_e32 v85, v68, v41
	v_mul_f32_e32 v41, v58, v41
	s_delay_alu instid0(VALU_DEP_1) | instskip(SKIP_1) | instid1(VALU_DEP_1)
	v_fmac_f32_e32 v41, v68, v40
	v_and_b32_e32 v1, 0xffff, v1
	v_mul_u32_u24_e32 v1, 0x5dc, v1
	s_delay_alu instid0(VALU_DEP_1)
	v_add3_u32 v1, 0, v1, v66
	ds_load_2addr_b32 v[66:67], v29 offset0:11 offset1:236
	ds_load_b32 v76, v2
	ds_load_b32 v77, v22
	;; [unrolled: 1-line block ×3, first 2 shown]
	ds_load_2addr_b32 v[70:71], v32 offset0:13 offset1:238
	ds_load_b32 v79, v0
	ds_load_b32 v80, v31
	global_wb scope:SCOPE_SE
	s_wait_loadcnt_dscnt 0x0
	s_barrier_signal -1
	s_barrier_wait -1
	global_inv scope:SCOPE_SE
	v_mul_f32_e32 v62, v71, v51
	v_mul_f32_e32 v51, v61, v51
	;; [unrolled: 1-line block ×4, first 2 shown]
	s_delay_alu instid0(VALU_DEP_3) | instskip(SKIP_1) | instid1(VALU_DEP_3)
	v_fmac_f32_e32 v51, v71, v50
	v_mul_f32_e32 v17, v55, v17
	v_fmac_f32_e32 v43, v67, v42
	s_delay_alu instid0(VALU_DEP_2) | instskip(SKIP_1) | instid1(VALU_DEP_2)
	v_dual_fmac_f32 v17, v65, v16 :: v_dual_mul_f32 v16, v70, v47
	v_mul_f32_e32 v47, v60, v47
	v_fma_f32 v16, v60, v46, -v16
	s_delay_alu instid0(VALU_DEP_2)
	v_fmac_f32_e32 v47, v70, v46
	v_fma_f32 v46, v61, v50, -v62
	v_dual_add_f32 v50, v52, v14 :: v_dual_mul_f32 v87, v69, v45
	v_mul_f32_e32 v45, v59, v45
	v_mul_f32_e32 v83, v63, v19
	v_dual_mul_f32 v19, v53, v19 :: v_dual_mul_f32 v84, v66, v21
	v_mul_f32_e32 v21, v56, v21
	s_delay_alu instid0(VALU_DEP_3) | instskip(NEXT) | instid1(VALU_DEP_3)
	v_fma_f32 v53, v53, v18, -v83
	v_fmac_f32_e32 v19, v63, v18
	s_delay_alu instid0(VALU_DEP_4) | instskip(NEXT) | instid1(VALU_DEP_4)
	v_fma_f32 v18, v56, v20, -v84
	v_fmac_f32_e32 v21, v66, v20
	v_fma_f32 v20, v58, v40, -v85
	v_fma_f32 v40, v57, v42, -v86
	;; [unrolled: 1-line block ×3, first 2 shown]
	v_add_f32_e32 v59, v79, v19
	v_sub_f32_e32 v58, v19, v21
	v_add_f32_e32 v19, v19, v21
	v_add_f32_e32 v56, v13, v53
	;; [unrolled: 1-line block ×3, first 2 shown]
	v_sub_f32_e32 v53, v53, v18
	v_add_f32_e32 v65, v42, v16
	v_fmac_f32_e32 v79, -0.5, v19
	v_mul_f32_e32 v55, v64, v49
	v_dual_mul_f32 v49, v54, v49 :: v_dual_add_f32 v60, v3, v20
	v_add_f32_e32 v63, v76, v41
	v_add_f32_e32 v61, v20, v40
	v_sub_f32_e32 v20, v20, v40
	s_delay_alu instid0(VALU_DEP_4) | instskip(SKIP_3) | instid1(VALU_DEP_4)
	v_dual_fmac_f32 v49, v64, v48 :: v_dual_add_f32 v64, v10, v42
	v_sub_f32_e32 v42, v42, v16
	v_fmac_f32_e32 v45, v69, v44
	v_fma_f32 v44, v54, v48, -v55
	v_dual_sub_f32 v70, v49, v51 :: v_dual_add_f32 v71, v80, v49
	v_add_f32_e32 v49, v49, v51
	s_delay_alu instid0(VALU_DEP_4) | instskip(SKIP_4) | instid1(VALU_DEP_4)
	v_dual_sub_f32 v66, v45, v47 :: v_dual_add_f32 v67, v78, v45
	v_add_f32_e32 v45, v45, v47
	v_dual_add_f32 v69, v44, v46 :: v_dual_add_f32 v68, v11, v44
	v_sub_f32_e32 v44, v44, v46
	v_fmac_f32_e32 v10, -0.5, v65
	v_fmac_f32_e32 v78, -0.5, v45
	v_sub_f32_e32 v54, v15, v17
	v_fmac_f32_e32 v11, -0.5, v69
	v_add_f32_e32 v55, v77, v15
	v_add_f32_e32 v15, v15, v17
	v_fmac_f32_e32 v80, -0.5, v49
	v_add_f32_e32 v48, v12, v52
	v_sub_f32_e32 v52, v52, v14
	s_delay_alu instid0(VALU_DEP_4)
	v_dual_fmac_f32 v12, -0.5, v50 :: v_dual_fmac_f32 v77, -0.5, v15
	v_add_f32_e32 v15, v56, v18
	v_add_f32_e32 v18, v60, v40
	v_fmamk_f32 v60, v44, 0xbf5db3d7, v80
	v_sub_f32_e32 v62, v41, v43
	v_add_f32_e32 v41, v41, v43
	v_fmac_f32_e32 v13, -0.5, v57
	v_dual_fmac_f32 v3, -0.5, v61 :: v_dual_add_f32 v14, v48, v14
	v_add_f32_e32 v40, v63, v43
	s_delay_alu instid0(VALU_DEP_4)
	v_dual_fmac_f32 v76, -0.5, v41 :: v_dual_add_f32 v19, v68, v46
	v_add_f32_e32 v43, v71, v51
	v_fmamk_f32 v45, v54, 0x3f5db3d7, v12
	v_dual_fmamk_f32 v46, v52, 0xbf5db3d7, v77 :: v_dual_fmamk_f32 v51, v42, 0xbf5db3d7, v78
	v_fmac_f32_e32 v78, 0x3f5db3d7, v42
	v_dual_fmamk_f32 v42, v70, 0x3f5db3d7, v11 :: v_dual_add_f32 v17, v55, v17
	v_fmac_f32_e32 v12, 0xbf5db3d7, v54
	v_fmac_f32_e32 v77, 0x3f5db3d7, v52
	v_fmamk_f32 v48, v53, 0xbf5db3d7, v79
	v_fmamk_f32 v50, v20, 0xbf5db3d7, v76
	v_fmac_f32_e32 v76, 0x3f5db3d7, v20
	v_fmamk_f32 v20, v66, 0x3f5db3d7, v10
	v_dual_fmac_f32 v10, 0xbf5db3d7, v66 :: v_dual_add_f32 v21, v59, v21
	v_dual_fmac_f32 v80, 0x3f5db3d7, v44 :: v_dual_add_f32 v41, v67, v47
	v_fmamk_f32 v47, v58, 0x3f5db3d7, v13
	v_fmac_f32_e32 v13, 0xbf5db3d7, v58
	v_fmac_f32_e32 v79, 0x3f5db3d7, v53
	v_fmamk_f32 v49, v62, 0x3f5db3d7, v3
	v_dual_fmac_f32 v3, 0xbf5db3d7, v62 :: v_dual_add_f32 v16, v64, v16
	v_fmac_f32_e32 v11, 0xbf5db3d7, v70
	ds_store_2addr_b32 v73, v14, v45 offset1:125
	ds_store_b32 v73, v12 offset:1000
	ds_store_2addr_b32 v8, v15, v47 offset1:125
	ds_store_b32 v8, v13 offset:1000
	;; [unrolled: 2-line block ×5, first 2 shown]
	global_wb scope:SCOPE_SE
	s_wait_dscnt 0x0
	s_barrier_signal -1
	s_barrier_wait -1
	global_inv scope:SCOPE_SE
	ds_load_2addr_b32 v[18:19], v28 offset0:5 offset1:230
	ds_load_2addr_b32 v[52:53], v33 offset0:9 offset1:234
	ds_load_2addr_b32 v[54:55], v29 offset0:11 offset1:236
	ds_load_b32 v3, v2
	ds_load_2addr_b32 v[56:57], v30 offset0:7 offset1:232
	ds_load_b32 v70, v22
	ds_load_b32 v71, v23
	ds_load_2addr_b32 v[58:59], v32 offset0:13 offset1:238
	ds_load_b32 v81, v0
	ds_load_b32 v82, v31
	global_wb scope:SCOPE_SE
	s_wait_dscnt 0x0
	s_barrier_signal -1
	s_barrier_wait -1
	global_inv scope:SCOPE_SE
	ds_store_2addr_b32 v73, v17, v46 offset1:125
	ds_store_b32 v73, v77 offset:1000
	ds_store_2addr_b32 v8, v21, v48 offset1:125
	ds_store_b32 v8, v79 offset:1000
	;; [unrolled: 2-line block ×5, first 2 shown]
	v_sub_nc_u16 v1, v37, v34
	v_mul_u32_u24_e32 v10, 0x5d87, v72
	v_add_nc_u32_e32 v11, 0xffffff6a, v35
	v_dual_mov_b32 v13, v9 :: v_dual_lshlrev_b32 v8, 1, v35
	s_delay_alu instid0(VALU_DEP_4) | instskip(NEXT) | instid1(VALU_DEP_4)
	v_lshrrev_b16 v1, 1, v1
	v_lshrrev_b32_e32 v14, 16, v10
	s_wait_alu 0xf1ff
	v_cndmask_b32_e64 v60, v11, v36, s0
	v_lshlrev_b64_e32 v[10:11], 3, v[8:9]
	v_add_nc_u32_e32 v8, 0x96, v8
	v_add_nc_u16 v1, v1, v34
	v_sub_nc_u16 v15, v39, v14
	v_lshlrev_b32_e32 v12, 1, v60
	global_wb scope:SCOPE_SE
	s_wait_dscnt 0x0
	v_lshlrev_b64_e32 v[16:17], 3, v[8:9]
	v_lshrrev_b16 v1, 8, v1
	v_lshrrev_b16 v15, 1, v15
	v_add_co_u32 v20, s0, s8, v10
	s_wait_alu 0xf1ff
	v_add_co_ci_u32_e64 v21, s0, s9, v11, s0
	v_mul_lo_u16 v34, 0x177, v1
	v_add_nc_u16 v40, v15, v14
	v_lshlrev_b64_e32 v[14:15], 3, v[12:13]
	s_barrier_signal -1
	s_barrier_wait -1
	v_sub_nc_u16 v8, v37, v34
	v_lshrrev_b16 v34, 8, v40
	global_inv scope:SCOPE_SE
	global_load_b128 v[10:13], v[20:21], off offset:2960
	v_add_co_u32 v14, s0, s8, v14
	v_mul_lo_u16 v34, 0x177, v34
	v_and_b32_e32 v8, 0xffff, v8
	s_wait_alu 0xf1ff
	v_add_co_ci_u32_e64 v15, s0, s9, v15, s0
	v_add_co_u32 v40, s0, s8, v16
	v_sub_nc_u16 v34, v39, v34
	v_lshlrev_b32_e32 v44, 4, v8
	s_wait_alu 0xf1ff
	v_add_co_ci_u32_e64 v41, s0, s9, v17, s0
	global_load_b128 v[14:17], v[14:15], off offset:2960
	v_and_b32_e32 v34, 0xffff, v34
	s_clause 0x1
	global_load_b128 v[44:47], v44, s[8:9] offset:2960
	global_load_b128 v[40:43], v[40:41], off offset:2960
	v_cmp_lt_u32_e64 s0, 0x95, v35
	v_lshlrev_b32_e32 v65, 2, v60
	v_lshlrev_b32_e32 v48, 4, v34
	ds_load_2addr_b32 v[60:61], v28 offset0:5 offset1:230
	ds_load_2addr_b32 v[62:63], v33 offset0:9 offset1:234
	s_wait_alu 0xf1ff
	v_cndmask_b32_e64 v64, 0, 0x1194, s0
	v_lshl_add_u32 v74, v34, 2, 0
	global_load_b128 v[48:51], v48, s[8:9] offset:2960
	ds_load_2addr_b32 v[66:67], v30 offset0:7 offset1:232
	v_lshlrev_b32_e32 v8, 2, v8
	v_add3_u32 v73, 0, v64, v65
	ds_load_2addr_b32 v[64:65], v29 offset0:11 offset1:236
	v_lshl_add_u32 v72, v35, 2, 0
	s_wait_loadcnt_dscnt 0x403
	v_mul_f32_e32 v34, v60, v11
	v_mul_f32_e32 v11, v18, v11
	s_delay_alu instid0(VALU_DEP_2) | instskip(SKIP_1) | instid1(VALU_DEP_2)
	v_fma_f32 v18, v18, v10, -v34
	s_wait_loadcnt 0x3
	v_dual_fmac_f32 v11, v60, v10 :: v_dual_mul_f32 v80, v61, v15
	v_mul_f32_e32 v15, v19, v15
	s_wait_loadcnt_dscnt 0x100
	v_dual_mul_f32 v86, v67, v45 :: v_dual_mul_f32 v85, v65, v43
	v_mul_f32_e32 v43, v55, v43
	v_mul_f32_e32 v45, v57, v45
	;; [unrolled: 1-line block ×4, first 2 shown]
	s_delay_alu instid0(VALU_DEP_4)
	v_dual_mul_f32 v84, v66, v41 :: v_dual_fmac_f32 v43, v65, v42
	s_wait_loadcnt 0x0
	v_dual_fmac_f32 v45, v67, v44 :: v_dual_mul_f32 v34, v62, v49
	v_fma_f32 v19, v19, v14, -v80
	v_fmac_f32_e32 v15, v61, v14
	v_fma_f32 v14, v54, v16, -v83
	v_fmac_f32_e32 v17, v64, v16
	v_fma_f32 v34, v52, v48, -v34
	v_fma_f32 v16, v56, v40, -v84
	s_delay_alu instid0(VALU_DEP_4) | instskip(NEXT) | instid1(VALU_DEP_3)
	v_add_f32_e32 v54, v19, v14
	v_add_f32_e32 v65, v82, v34
	v_and_b32_e32 v1, 0xffff, v1
	s_delay_alu instid0(VALU_DEP_1) | instskip(NEXT) | instid1(VALU_DEP_1)
	v_mul_u32_u24_e32 v1, 0x1194, v1
	v_add3_u32 v1, 0, v1, v8
	ds_load_b32 v8, v0
	ds_load_b32 v75, v2
	ds_load_2addr_b32 v[68:69], v32 offset0:13 offset1:238
	ds_load_b32 v76, v22
	ds_load_b32 v77, v23
	;; [unrolled: 1-line block ×3, first 2 shown]
	v_mul_f32_e32 v79, v63, v13
	v_mul_f32_e32 v13, v53, v13
	global_wb scope:SCOPE_SE
	s_wait_dscnt 0x0
	s_barrier_signal -1
	s_barrier_wait -1
	v_fma_f32 v10, v53, v12, -v79
	v_dual_fmac_f32 v13, v63, v12 :: v_dual_mul_f32 v12, v58, v47
	v_add_f32_e32 v53, v81, v19
	v_sub_f32_e32 v19, v19, v14
	v_fmac_f32_e32 v81, -0.5, v54
	global_inv scope:SCOPE_SE
	v_fmac_f32_e32 v12, v68, v46
	v_mul_f32_e32 v87, v68, v47
	v_mul_f32_e32 v47, v52, v49
	v_mul_f32_e32 v49, v69, v51
	v_mul_f32_e32 v51, v59, v51
	v_sub_f32_e32 v63, v45, v12
	v_mul_f32_e32 v41, v56, v41
	v_dual_fmac_f32 v47, v62, v48 :: v_dual_add_f32 v52, v76, v11
	s_delay_alu instid0(VALU_DEP_4) | instskip(NEXT) | instid1(VALU_DEP_3)
	v_dual_fmac_f32 v51, v69, v50 :: v_dual_add_f32 v56, v8, v15
	v_fmac_f32_e32 v41, v66, v40
	v_fma_f32 v40, v55, v42, -v85
	v_fma_f32 v42, v57, v44, -v86
	;; [unrolled: 1-line block ×4, first 2 shown]
	v_dual_add_f32 v49, v18, v10 :: v_dual_sub_f32 v50, v11, v13
	v_add_f32_e32 v11, v11, v13
	v_sub_f32_e32 v55, v15, v17
	v_dual_add_f32 v15, v15, v17 :: v_dual_add_f32 v58, v16, v40
	v_dual_sub_f32 v59, v41, v43 :: v_dual_add_f32 v60, v75, v41
	v_dual_add_f32 v41, v41, v43 :: v_dual_add_f32 v62, v42, v44
	v_add_f32_e32 v66, v34, v46
	v_add_f32_e32 v48, v70, v18
	;; [unrolled: 1-line block ×4, first 2 shown]
	v_sub_f32_e32 v67, v47, v51
	v_add_f32_e32 v68, v78, v47
	v_dual_add_f32 v47, v47, v51 :: v_dual_fmac_f32 v70, -0.5, v49
	v_dual_sub_f32 v18, v18, v10 :: v_dual_add_f32 v57, v3, v16
	v_dual_sub_f32 v16, v16, v40 :: v_dual_add_f32 v61, v71, v42
	v_fmac_f32_e32 v76, -0.5, v11
	v_dual_fmac_f32 v8, -0.5, v15 :: v_dual_fmac_f32 v3, -0.5, v58
	v_fmac_f32_e32 v75, -0.5, v41
	v_fmac_f32_e32 v71, -0.5, v62
	;; [unrolled: 1-line block ×3, first 2 shown]
	v_sub_f32_e32 v42, v42, v44
	v_sub_f32_e32 v34, v34, v46
	v_dual_add_f32 v10, v48, v10 :: v_dual_fmac_f32 v77, -0.5, v45
	v_fmac_f32_e32 v78, -0.5, v47
	v_fmamk_f32 v15, v50, 0x3f5db3d7, v70
	v_fmac_f32_e32 v70, 0xbf5db3d7, v50
	v_dual_add_f32 v11, v53, v14 :: v_dual_add_f32 v48, v52, v13
	v_add_f32_e32 v49, v56, v17
	v_add_f32_e32 v13, v57, v40
	;; [unrolled: 1-line block ×5, first 2 shown]
	v_fmamk_f32 v46, v18, 0xbf5db3d7, v76
	v_dual_fmac_f32 v76, 0x3f5db3d7, v18 :: v_dual_fmamk_f32 v17, v55, 0x3f5db3d7, v81
	v_fmamk_f32 v47, v19, 0xbf5db3d7, v8
	v_fmac_f32_e32 v8, 0x3f5db3d7, v19
	v_fmamk_f32 v18, v59, 0x3f5db3d7, v3
	v_fmamk_f32 v50, v16, 0xbf5db3d7, v75
	v_fmac_f32_e32 v75, 0x3f5db3d7, v16
	v_fmamk_f32 v16, v63, 0x3f5db3d7, v71
	v_dual_fmamk_f32 v19, v67, 0x3f5db3d7, v82 :: v_dual_add_f32 v52, v60, v43
	v_add_f32_e32 v45, v68, v51
	v_fmac_f32_e32 v81, 0xbf5db3d7, v55
	v_fmac_f32_e32 v3, 0xbf5db3d7, v59
	v_fmac_f32_e32 v71, 0xbf5db3d7, v63
	v_fmamk_f32 v51, v42, 0xbf5db3d7, v77
	v_fmac_f32_e32 v77, 0x3f5db3d7, v42
	v_fmac_f32_e32 v82, 0xbf5db3d7, v67
	v_fmamk_f32 v53, v34, 0xbf5db3d7, v78
	v_fmac_f32_e32 v78, 0x3f5db3d7, v34
	ds_store_b32 v22, v10
	ds_store_b32 v22, v15 offset:1500
	ds_store_b32 v22, v70 offset:3000
	ds_store_b32 v73, v11
	ds_store_b32 v73, v17 offset:1500
	ds_store_b32 v73, v81 offset:3000
	;; [unrolled: 1-line block ×5, first 2 shown]
	ds_store_b32 v1, v14
	ds_store_b32 v1, v16 offset:1500
	ds_store_b32 v1, v71 offset:3000
	;; [unrolled: 1-line block ×5, first 2 shown]
	global_wb scope:SCOPE_SE
	s_wait_dscnt 0x0
	s_barrier_signal -1
	s_barrier_wait -1
	global_inv scope:SCOPE_SE
	ds_load_2addr_b32 v[10:11], v28 offset0:5 offset1:230
	ds_load_2addr_b32 v[18:19], v33 offset0:9 offset1:234
	;; [unrolled: 1-line block ×3, first 2 shown]
	ds_load_b32 v40, v2
	ds_load_2addr_b32 v[14:15], v30 offset0:7 offset1:232
	ds_load_b32 v42, v22
	ds_load_b32 v41, v23
	ds_load_2addr_b32 v[16:17], v32 offset0:13 offset1:238
	ds_load_b32 v34, v0
	ds_load_b32 v43, v31
	global_wb scope:SCOPE_SE
	s_wait_dscnt 0x0
	s_barrier_signal -1
	s_barrier_wait -1
	global_inv scope:SCOPE_SE
	ds_store_b32 v22, v48
	ds_store_b32 v22, v46 offset:1500
	ds_store_b32 v22, v76 offset:3000
	ds_store_b32 v73, v49
	ds_store_b32 v73, v47 offset:1500
	ds_store_b32 v73, v8 offset:3000
	;; [unrolled: 1-line block ×5, first 2 shown]
	ds_store_b32 v1, v44
	ds_store_b32 v1, v51 offset:1500
	ds_store_b32 v1, v77 offset:3000
	;; [unrolled: 1-line block ×5, first 2 shown]
	global_wb scope:SCOPE_SE
	s_wait_dscnt 0x0
	s_barrier_signal -1
	s_barrier_wait -1
	global_inv scope:SCOPE_SE
	s_and_saveexec_b32 s0, vcc_lo
	s_cbranch_execz .LBB0_15
; %bb.14:
	v_lshlrev_b32_e32 v8, 1, v39
	v_add_nc_u32_e32 v58, 0x2a3, v35
	v_add_nc_u32_e32 v59, 0x384, v35
	;; [unrolled: 1-line block ×4, first 2 shown]
	v_lshlrev_b64_e32 v[0:1], 3, v[8:9]
	v_lshlrev_b32_e32 v8, 1, v37
	v_mul_hi_u32 v62, 0xe90452d5, v58
	v_mul_hi_u32 v60, 0xe90452d5, v56
	;; [unrolled: 1-line block ×3, first 2 shown]
	v_lshlrev_b64_e32 v[4:5], 3, v[4:5]
	v_add_co_u32 v0, vcc_lo, s8, v0
	v_lshlrev_b64_e32 v[48:49], 3, v[8:9]
	s_wait_alu 0xfffd
	v_add_co_ci_u32_e32 v1, vcc_lo, s9, v1, vcc_lo
	v_lshlrev_b32_e32 v8, 1, v38
	s_clause 0x1
	global_load_b128 v[0:3], v[0:1], off offset:8960
	global_load_b128 v[44:47], v[20:21], off offset:8960
	v_add_co_u32 v20, vcc_lo, s8, v48
	s_wait_alu 0xfffd
	v_add_co_ci_u32_e32 v21, vcc_lo, s9, v49, vcc_lo
	global_load_b128 v[48:51], v[20:21], off offset:8960
	v_lshlrev_b64_e32 v[20:21], 3, v[8:9]
	v_lshlrev_b32_e32 v8, 1, v36
	s_delay_alu instid0(VALU_DEP_1) | instskip(NEXT) | instid1(VALU_DEP_3)
	v_lshlrev_b64_e32 v[8:9], 3, v[8:9]
	v_add_co_u32 v20, vcc_lo, s8, v20
	s_wait_alu 0xfffd
	s_delay_alu instid0(VALU_DEP_4) | instskip(NEXT) | instid1(VALU_DEP_3)
	v_add_co_ci_u32_e32 v21, vcc_lo, s9, v21, vcc_lo
	v_add_co_u32 v8, vcc_lo, s8, v8
	s_wait_alu 0xfffd
	v_add_co_ci_u32_e32 v9, vcc_lo, s9, v9, vcc_lo
	s_clause 0x1
	global_load_b128 v[52:55], v[20:21], off offset:8960
	global_load_b128 v[36:39], v[8:9], off offset:8960
	v_sub_nc_u32_e32 v20, 0, v26
	v_sub_nc_u32_e32 v21, 0, v27
	v_mul_lo_u32 v26, s3, v6
	v_mul_lo_u32 v27, s2, v7
	v_mad_co_u64_u32 v[6:7], null, s2, v6, 0
	ds_load_2addr_b32 v[8:9], v33 offset0:9 offset1:234
	v_mul_hi_u32 v33, 0xe90452d5, v35
	v_add_nc_u32_e32 v88, v24, v20
	v_lshrrev_b32_e32 v24, 10, v60
	v_add3_u32 v7, v7, v27, v26
	v_mul_hi_u32 v26, 0xe90452d5, v59
	v_lshrrev_b32_e32 v27, 10, v62
	v_lshrrev_b32_e32 v33, 10, v33
	s_delay_alu instid0(VALU_DEP_4) | instskip(NEXT) | instid1(VALU_DEP_2)
	v_lshlrev_b64_e32 v[6:7], 3, v[6:7]
	v_mul_u32_u24_e32 v20, 0x465, v33
	v_lshrrev_b32_e32 v26, 10, v26
	s_delay_alu instid0(VALU_DEP_2) | instskip(SKIP_1) | instid1(VALU_DEP_3)
	v_sub_nc_u32_e32 v33, v35, v20
	v_mul_u32_u24_e32 v35, 0x465, v27
	v_mul_u32_u24_e32 v60, 0x465, v26
	;; [unrolled: 1-line block ×3, first 2 shown]
	s_delay_alu instid0(VALU_DEP_4) | instskip(NEXT) | instid1(VALU_DEP_4)
	v_add_nc_u32_e32 v69, 0x465, v33
	v_sub_nc_u32_e32 v35, v58, v35
	s_delay_alu instid0(VALU_DEP_4) | instskip(NEXT) | instid1(VALU_DEP_4)
	v_sub_nc_u32_e32 v58, v59, v60
	v_sub_nc_u32_e32 v56, v56, v20
	v_add_nc_u32_e32 v71, 0x8ca, v33
	s_delay_alu instid0(VALU_DEP_4) | instskip(NEXT) | instid1(VALU_DEP_4)
	v_mad_u32_u24 v35, 0xd2f, v27, v35
	v_mad_u32_u24 v76, 0xd2f, v26, v58
	s_delay_alu instid0(VALU_DEP_4) | instskip(NEXT) | instid1(VALU_DEP_3)
	v_mad_u32_u24 v72, 0xd2f, v24, v56
	v_add_nc_u32_e32 v83, 0x465, v35
	s_delay_alu instid0(VALU_DEP_3) | instskip(NEXT) | instid1(VALU_DEP_3)
	v_add_nc_u32_e32 v85, 0x465, v76
	v_add_nc_u32_e32 v75, 0x8ca, v72
	v_mad_co_u64_u32 v[58:59], null, s16, v76, 0
	s_delay_alu instid0(VALU_DEP_3)
	v_mad_co_u64_u32 v[79:80], null, s16, v85, 0
	v_add_nc_u32_e32 v87, v25, v21
	v_lshrrev_b32_e32 v25, 10, v61
	v_add_co_u32 v61, vcc_lo, s6, v6
	s_wait_alu 0xfffd
	v_add_co_ci_u32_e32 v62, vcc_lo, s7, v7, vcc_lo
	s_delay_alu instid0(VALU_DEP_3) | instskip(NEXT) | instid1(VALU_DEP_3)
	v_mul_u32_u24_e32 v21, 0x465, v25
	v_add_co_u32 v89, vcc_lo, v61, v4
	v_mad_co_u64_u32 v[6:7], null, s16, v33, 0
	s_delay_alu instid0(VALU_DEP_3)
	v_sub_nc_u32_e32 v57, v57, v21
	s_wait_alu 0xfffd
	v_add_co_ci_u32_e32 v90, vcc_lo, v62, v5, vcc_lo
	v_mad_co_u64_u32 v[4:5], null, s16, v69, 0
	v_mad_co_u64_u32 v[20:21], null, s16, v71, 0
	v_mad_u32_u24 v73, 0xd2f, v25, v57
	v_mad_co_u64_u32 v[24:25], null, s16, v72, 0
	s_wait_dscnt 0x0
	v_mad_co_u64_u32 v[60:61], null, s17, v33, v[7:8]
	v_mad_co_u64_u32 v[69:70], null, s17, v69, v[5:6]
	v_dual_mov_b32 v7, v21 :: v_dual_add_nc_u32 v74, 0x465, v72
	v_mad_co_u64_u32 v[26:27], null, s16, v73, 0
	v_mad_co_u64_u32 v[56:57], null, s16, v35, 0
	v_mov_b32_e32 v5, v25
	v_mad_co_u64_u32 v[63:64], null, s16, v75, 0
	v_add_nc_u32_e32 v77, 0x465, v73
	v_mad_co_u64_u32 v[70:71], null, s17, v71, v[7:8]
	v_add_nc_u32_e32 v78, 0x8ca, v73
	v_mad_co_u64_u32 v[71:72], null, s17, v72, v[5:6]
	v_mov_b32_e32 v33, v64
	v_mov_b32_e32 v5, v69
	v_mad_co_u64_u32 v[61:62], null, s16, v74, 0
	v_mov_b32_e32 v21, v27
	v_mov_b32_e32 v25, v57
	v_mad_co_u64_u32 v[65:66], null, s16, v77, 0
	v_mad_co_u64_u32 v[67:68], null, s16, v78, 0
	v_mov_b32_e32 v7, v60
	v_mov_b32_e32 v27, v59
	v_mad_co_u64_u32 v[59:60], null, s17, v73, v[21:22]
	v_mad_co_u64_u32 v[72:73], null, s17, v35, v[25:26]
	v_dual_mov_b32 v25, v62 :: v_dual_add_nc_u32 v84, 0x8ca, v35
	v_mov_b32_e32 v21, v70
	v_dual_mov_b32 v35, v66 :: v_dual_mov_b32 v60, v80
	s_delay_alu instid0(VALU_DEP_3)
	v_mad_co_u64_u32 v[69:70], null, s17, v74, v[25:26]
	v_mov_b32_e32 v25, v68
	v_mad_co_u64_u32 v[73:74], null, s17, v75, v[33:34]
	v_mad_co_u64_u32 v[74:75], null, s17, v76, v[27:28]
	v_dual_mov_b32 v57, v72 :: v_dual_add_nc_u32 v68, 0x8ca, v76
	v_dual_mov_b32 v27, v59 :: v_dual_mov_b32 v62, v69
	s_delay_alu instid0(VALU_DEP_4) | instskip(NEXT) | instid1(VALU_DEP_3)
	v_mov_b32_e32 v64, v73
	v_mad_co_u64_u32 v[81:82], null, s16, v68, 0
	v_mov_b32_e32 v59, v74
	v_lshlrev_b64_e32 v[6:7], 3, v[6:7]
	v_lshlrev_b64_e32 v[4:5], 3, v[4:5]
	;; [unrolled: 1-line block ×3, first 2 shown]
	s_delay_alu instid0(VALU_DEP_3) | instskip(SKIP_1) | instid1(VALU_DEP_4)
	v_add_co_u32 v6, vcc_lo, v89, v6
	s_wait_alu 0xfffd
	v_add_co_ci_u32_e32 v7, vcc_lo, v90, v7, vcc_lo
	s_delay_alu instid0(VALU_DEP_4)
	v_add_co_u32 v4, vcc_lo, v89, v4
	s_wait_alu 0xfffd
	v_add_co_ci_u32_e32 v5, vcc_lo, v90, v5, vcc_lo
	v_add_co_u32 v20, vcc_lo, v89, v20
	s_wait_alu 0xfffd
	v_add_co_ci_u32_e32 v21, vcc_lo, v90, v21, vcc_lo
	s_wait_loadcnt 0x0
	v_mad_co_u64_u32 v[75:76], null, s17, v77, v[35:36]
	v_mad_co_u64_u32 v[76:77], null, s17, v78, v[25:26]
	v_mad_co_u64_u32 v[77:78], null, s16, v83, 0
	v_mov_b32_e32 v25, v71
	v_mad_co_u64_u32 v[70:71], null, s16, v84, 0
	s_delay_alu instid0(VALU_DEP_3) | instskip(NEXT) | instid1(VALU_DEP_2)
	v_dual_mov_b32 v66, v75 :: v_dual_mov_b32 v33, v78
	v_mov_b32_e32 v35, v71
	s_delay_alu instid0(VALU_DEP_2)
	v_mad_co_u64_u32 v[71:72], null, s17, v83, v[33:34]
	ds_load_2addr_b32 v[32:33], v32 offset0:13 offset1:238
	v_mad_co_u64_u32 v[72:73], null, s17, v84, v[35:36]
	ds_load_2addr_b32 v[73:74], v30 offset0:7 offset1:232
	v_mov_b32_e32 v30, v82
	v_mad_co_u64_u32 v[82:83], null, s17, v85, v[60:61]
	ds_load_2addr_b32 v[83:84], v29 offset0:11 offset1:236
	ds_load_2addr_b32 v[85:86], v28 offset0:5 offset1:230
	ds_load_b32 v35, v31
	ds_load_b32 v75, v23
	;; [unrolled: 1-line block ×5, first 2 shown]
	v_dual_mov_b32 v78, v71 :: v_dual_mov_b32 v71, v72
	v_mad_co_u64_u32 v[29:30], null, s17, v68, v[30:31]
	v_lshlrev_b64_e32 v[22:23], 3, v[24:25]
	v_mov_b32_e32 v68, v76
	v_lshlrev_b64_e32 v[30:31], 3, v[58:59]
	v_lshlrev_b64_e32 v[58:59], 3, v[65:66]
	v_mul_f32_e32 v76, v9, v47
	v_lshlrev_b64_e32 v[24:25], 3, v[26:27]
	v_lshlrev_b64_e32 v[26:27], 3, v[56:57]
	;; [unrolled: 1-line block ×4, first 2 shown]
	v_mul_f32_e32 v70, v8, v1
	v_mul_f32_e32 v1, v18, v1
	s_wait_dscnt 0x5
	v_mul_f32_e32 v72, v85, v45
	v_mul_f32_e32 v45, v10, v45
	;; [unrolled: 1-line block ×3, first 2 shown]
	v_fma_f32 v18, v18, v0, -v70
	v_mul_f32_e32 v71, v33, v3
	v_mul_f32_e32 v3, v17, v3
	v_dual_fmac_f32 v1, v0, v8 :: v_dual_mul_f32 v0, v74, v49
	v_mul_f32_e32 v8, v15, v49
	s_delay_alu instid0(VALU_DEP_4)
	v_fma_f32 v17, v17, v2, -v71
	v_fma_f32 v10, v10, v44, -v72
	;; [unrolled: 1-line block ×4, first 2 shown]
	v_fmac_f32_e32 v8, v48, v74
	v_mul_f32_e32 v48, v14, v53
	v_dual_fmac_f32 v3, v2, v33 :: v_dual_mul_f32 v2, v32, v51
	v_mul_f32_e32 v33, v16, v51
	v_add_f32_e32 v72, v10, v19
	v_mov_b32_e32 v80, v82
	v_mov_b32_e32 v82, v29
	v_fma_f32 v70, v16, v50, -v2
	v_dual_mul_f32 v16, v73, v53 :: v_dual_sub_f32 v53, v10, v19
	v_add_f32_e32 v10, v42, v10
	v_dual_fmac_f32 v33, v50, v32 :: v_dual_mul_f32 v32, v84, v55
	v_dual_fmac_f32 v45, v44, v85 :: v_dual_add_f32 v74, v41, v15
	v_mul_f32_e32 v50, v13, v55
	v_lshlrev_b64_e32 v[28:29], 3, v[61:62]
	v_lshlrev_b64_e32 v[62:63], 3, v[77:78]
	v_fmac_f32_e32 v47, v46, v9
	s_wait_dscnt 0x2
	v_dual_add_f32 v71, v45, v91 :: v_dual_fmac_f32 v50, v54, v84
	v_fma_f32 v77, v13, v54, -v32
	v_dual_mul_f32 v54, v83, v39 :: v_dual_add_f32 v49, v18, v17
	v_sub_f32_e32 v44, v18, v17
	v_add_f32_e32 v46, v1, v35
	v_dual_sub_f32 v51, v1, v3 :: v_dual_fmac_f32 v48, v52, v73
	v_dual_add_f32 v18, v43, v18 :: v_dual_add_f32 v9, v1, v3
	v_add_f32_e32 v55, v45, v47
	v_fma_f32 v76, v14, v52, -v16
	v_mul_f32_e32 v52, v86, v37
	v_add_f32_e32 v14, v47, v71
	v_fma_f32 v0, -0.5, v49, v43
	v_dual_sub_f32 v45, v45, v47 :: v_dual_add_f32 v32, v74, v70
	v_dual_add_f32 v3, v3, v46 :: v_dual_add_f32 v2, v18, v17
	v_fma_f32 v1, -0.5, v9, v35
	v_sub_f32_e32 v35, v15, v70
	v_dual_add_f32 v43, v8, v75 :: v_dual_add_f32 v46, v15, v70
	v_mul_f32_e32 v37, v11, v37
	v_fma_f32 v9, -0.5, v55, v91
	v_fmamk_f32 v15, v51, 0xbf5db3d7, v0
	v_dual_fmac_f32 v0, 0x3f5db3d7, v51 :: v_dual_add_f32 v17, v8, v33
	v_sub_f32_e32 v49, v8, v33
	v_fma_f32 v8, -0.5, v72, v42
	s_wait_dscnt 0x1
	v_add_f32_e32 v42, v48, v87
	v_fma_f32 v47, v11, v36, -v52
	v_add_co_u32 v22, vcc_lo, v89, v22
	s_wait_alu 0xfffd
	v_add_co_ci_u32_e32 v23, vcc_lo, v90, v23, vcc_lo
	v_add_co_u32 v24, vcc_lo, v89, v24
	v_dual_add_f32 v13, v10, v19 :: v_dual_fmamk_f32 v16, v44, 0x3f5db3d7, v1
	v_fmac_f32_e32 v1, 0xbf5db3d7, v44
	v_add_f32_e32 v19, v48, v50
	v_sub_f32_e32 v44, v48, v50
	v_fma_f32 v48, v12, v38, -v54
	v_fmac_f32_e32 v37, v36, v86
	v_fmamk_f32 v11, v53, 0x3f5db3d7, v9
	v_dual_fmac_f32 v9, 0xbf5db3d7, v53 :: v_dual_fmamk_f32 v10, v45, 0xbf5db3d7, v8
	v_fma_f32 v18, -0.5, v17, v75
	v_dual_fmac_f32 v8, 0x3f5db3d7, v45 :: v_dual_add_f32 v33, v33, v43
	v_add_f32_e32 v36, v50, v42
	v_dual_add_f32 v42, v34, v47 :: v_dual_add_f32 v43, v76, v77
	s_wait_alu 0xfffd
	v_add_co_ci_u32_e32 v25, vcc_lo, v90, v25, vcc_lo
	v_add_co_u32 v26, vcc_lo, v89, v26
	s_wait_alu 0xfffd
	v_add_co_ci_u32_e32 v27, vcc_lo, v90, v27, vcc_lo
	v_add_co_u32 v30, vcc_lo, v89, v30
	v_fma_f32 v17, -0.5, v46, v41
	v_sub_f32_e32 v41, v76, v77
	v_add_f32_e32 v46, v40, v76
	global_store_b64 v[6:7], v[13:14], off
	v_sub_f32_e32 v14, v47, v48
	v_fmamk_f32 v7, v35, 0x3f5db3d7, v18
	v_fmac_f32_e32 v18, 0xbf5db3d7, v35
	v_dual_mul_f32 v39, v12, v39 :: v_dual_fmamk_f32 v6, v49, 0xbf5db3d7, v17
	s_clause 0x1
	global_store_b64 v[4:5], v[8:9], off
	global_store_b64 v[20:21], v[10:11], off
	v_add_f32_e32 v10, v42, v48
	v_fma_f32 v12, -0.5, v43, v40
	v_add_f32_e32 v40, v47, v48
	s_wait_alu 0xfffd
	v_add_co_ci_u32_e32 v31, vcc_lo, v90, v31, vcc_lo
	v_add_co_u32 v28, vcc_lo, v89, v28
	s_wait_alu 0xfffd
	v_add_co_ci_u32_e32 v29, vcc_lo, v90, v29, vcc_lo
	v_fma_f32 v4, -0.5, v40, v34
	v_fmac_f32_e32 v39, v38, v83
	v_lshlrev_b64_e32 v[60:61], 3, v[67:68]
	v_add_co_u32 v56, vcc_lo, v89, v56
	s_wait_alu 0xfffd
	v_add_co_ci_u32_e32 v57, vcc_lo, v90, v57, vcc_lo
	v_add_co_u32 v58, vcc_lo, v89, v58
	v_fma_f32 v13, -0.5, v19, v87
	v_fmamk_f32 v8, v44, 0xbf5db3d7, v12
	v_dual_fmac_f32 v12, 0x3f5db3d7, v44 :: v_dual_add_f32 v19, v37, v39
	s_wait_alu 0xfffd
	v_add_co_ci_u32_e32 v59, vcc_lo, v90, v59, vcc_lo
	v_add_co_u32 v60, vcc_lo, v89, v60
	s_wait_alu 0xfffd
	v_add_co_ci_u32_e32 v61, vcc_lo, v90, v61, vcc_lo
	s_wait_dscnt 0x0
	v_add_f32_e32 v38, v37, v88
	v_sub_f32_e32 v37, v37, v39
	v_lshlrev_b64_e32 v[66:67], 3, v[79:80]
	v_add_co_u32 v62, vcc_lo, v89, v62
	v_fma_f32 v5, -0.5, v19, v88
	s_wait_alu 0xfffd
	v_add_co_ci_u32_e32 v63, vcc_lo, v90, v63, vcc_lo
	v_lshlrev_b64_e32 v[68:69], 3, v[81:82]
	v_add_co_u32 v64, vcc_lo, v89, v64
	v_fmamk_f32 v19, v37, 0xbf5db3d7, v4
	v_dual_fmac_f32 v4, 0x3f5db3d7, v37 :: v_dual_add_f32 v11, v39, v38
	s_wait_alu 0xfffd
	v_add_co_ci_u32_e32 v65, vcc_lo, v90, v65, vcc_lo
	v_fmamk_f32 v20, v14, 0x3f5db3d7, v5
	v_fmac_f32_e32 v5, 0xbf5db3d7, v14
	v_add_co_u32 v66, vcc_lo, v89, v66
	v_fmac_f32_e32 v17, 0x3f5db3d7, v49
	v_add_f32_e32 v35, v46, v77
	s_wait_alu 0xfffd
	v_add_co_ci_u32_e32 v67, vcc_lo, v90, v67, vcc_lo
	v_fmamk_f32 v9, v41, 0x3f5db3d7, v13
	v_fmac_f32_e32 v13, 0xbf5db3d7, v41
	s_clause 0x6
	global_store_b64 v[22:23], v[10:11], off
	global_store_b64 v[28:29], v[4:5], off
	;; [unrolled: 1-line block ×7, first 2 shown]
	v_add_co_u32 v4, vcc_lo, v89, v68
	s_wait_alu 0xfffd
	v_add_co_ci_u32_e32 v5, vcc_lo, v90, v69, vcc_lo
	s_clause 0x4
	global_store_b64 v[62:63], v[17:18], off
	global_store_b64 v[64:65], v[6:7], off
	;; [unrolled: 1-line block ×5, first 2 shown]
.LBB0_15:
	s_nop 0
	s_sendmsg sendmsg(MSG_DEALLOC_VGPRS)
	s_endpgm
	.section	.rodata,"a",@progbits
	.p2align	6, 0x0
	.amdhsa_kernel fft_rtc_fwd_len3375_factors_5_5_5_3_3_3_wgs_225_tpt_225_halfLds_sp_op_CI_CI_sbrr_dirReg
		.amdhsa_group_segment_fixed_size 0
		.amdhsa_private_segment_fixed_size 0
		.amdhsa_kernarg_size 104
		.amdhsa_user_sgpr_count 2
		.amdhsa_user_sgpr_dispatch_ptr 0
		.amdhsa_user_sgpr_queue_ptr 0
		.amdhsa_user_sgpr_kernarg_segment_ptr 1
		.amdhsa_user_sgpr_dispatch_id 0
		.amdhsa_user_sgpr_private_segment_size 0
		.amdhsa_wavefront_size32 1
		.amdhsa_uses_dynamic_stack 0
		.amdhsa_enable_private_segment 0
		.amdhsa_system_sgpr_workgroup_id_x 1
		.amdhsa_system_sgpr_workgroup_id_y 0
		.amdhsa_system_sgpr_workgroup_id_z 0
		.amdhsa_system_sgpr_workgroup_info 0
		.amdhsa_system_vgpr_workitem_id 0
		.amdhsa_next_free_vgpr 92
		.amdhsa_next_free_sgpr 43
		.amdhsa_reserve_vcc 1
		.amdhsa_float_round_mode_32 0
		.amdhsa_float_round_mode_16_64 0
		.amdhsa_float_denorm_mode_32 3
		.amdhsa_float_denorm_mode_16_64 3
		.amdhsa_fp16_overflow 0
		.amdhsa_workgroup_processor_mode 1
		.amdhsa_memory_ordered 1
		.amdhsa_forward_progress 0
		.amdhsa_round_robin_scheduling 0
		.amdhsa_exception_fp_ieee_invalid_op 0
		.amdhsa_exception_fp_denorm_src 0
		.amdhsa_exception_fp_ieee_div_zero 0
		.amdhsa_exception_fp_ieee_overflow 0
		.amdhsa_exception_fp_ieee_underflow 0
		.amdhsa_exception_fp_ieee_inexact 0
		.amdhsa_exception_int_div_zero 0
	.end_amdhsa_kernel
	.text
.Lfunc_end0:
	.size	fft_rtc_fwd_len3375_factors_5_5_5_3_3_3_wgs_225_tpt_225_halfLds_sp_op_CI_CI_sbrr_dirReg, .Lfunc_end0-fft_rtc_fwd_len3375_factors_5_5_5_3_3_3_wgs_225_tpt_225_halfLds_sp_op_CI_CI_sbrr_dirReg
                                        ; -- End function
	.section	.AMDGPU.csdata,"",@progbits
; Kernel info:
; codeLenInByte = 13708
; NumSgprs: 45
; NumVgprs: 92
; ScratchSize: 0
; MemoryBound: 0
; FloatMode: 240
; IeeeMode: 1
; LDSByteSize: 0 bytes/workgroup (compile time only)
; SGPRBlocks: 5
; VGPRBlocks: 11
; NumSGPRsForWavesPerEU: 45
; NumVGPRsForWavesPerEU: 92
; Occupancy: 16
; WaveLimiterHint : 1
; COMPUTE_PGM_RSRC2:SCRATCH_EN: 0
; COMPUTE_PGM_RSRC2:USER_SGPR: 2
; COMPUTE_PGM_RSRC2:TRAP_HANDLER: 0
; COMPUTE_PGM_RSRC2:TGID_X_EN: 1
; COMPUTE_PGM_RSRC2:TGID_Y_EN: 0
; COMPUTE_PGM_RSRC2:TGID_Z_EN: 0
; COMPUTE_PGM_RSRC2:TIDIG_COMP_CNT: 0
	.text
	.p2alignl 7, 3214868480
	.fill 96, 4, 3214868480
	.type	__hip_cuid_f7126598e0e2f584,@object ; @__hip_cuid_f7126598e0e2f584
	.section	.bss,"aw",@nobits
	.globl	__hip_cuid_f7126598e0e2f584
__hip_cuid_f7126598e0e2f584:
	.byte	0                               ; 0x0
	.size	__hip_cuid_f7126598e0e2f584, 1

	.ident	"AMD clang version 19.0.0git (https://github.com/RadeonOpenCompute/llvm-project roc-6.4.0 25133 c7fe45cf4b819c5991fe208aaa96edf142730f1d)"
	.section	".note.GNU-stack","",@progbits
	.addrsig
	.addrsig_sym __hip_cuid_f7126598e0e2f584
	.amdgpu_metadata
---
amdhsa.kernels:
  - .args:
      - .actual_access:  read_only
        .address_space:  global
        .offset:         0
        .size:           8
        .value_kind:     global_buffer
      - .offset:         8
        .size:           8
        .value_kind:     by_value
      - .actual_access:  read_only
        .address_space:  global
        .offset:         16
        .size:           8
        .value_kind:     global_buffer
      - .actual_access:  read_only
        .address_space:  global
        .offset:         24
        .size:           8
        .value_kind:     global_buffer
      - .actual_access:  read_only
        .address_space:  global
        .offset:         32
        .size:           8
        .value_kind:     global_buffer
      - .offset:         40
        .size:           8
        .value_kind:     by_value
      - .actual_access:  read_only
        .address_space:  global
        .offset:         48
        .size:           8
        .value_kind:     global_buffer
      - .actual_access:  read_only
        .address_space:  global
        .offset:         56
        .size:           8
        .value_kind:     global_buffer
      - .offset:         64
        .size:           4
        .value_kind:     by_value
      - .actual_access:  read_only
        .address_space:  global
        .offset:         72
        .size:           8
        .value_kind:     global_buffer
      - .actual_access:  read_only
        .address_space:  global
        .offset:         80
        .size:           8
        .value_kind:     global_buffer
      - .actual_access:  read_only
        .address_space:  global
        .offset:         88
        .size:           8
        .value_kind:     global_buffer
      - .actual_access:  write_only
        .address_space:  global
        .offset:         96
        .size:           8
        .value_kind:     global_buffer
    .group_segment_fixed_size: 0
    .kernarg_segment_align: 8
    .kernarg_segment_size: 104
    .language:       OpenCL C
    .language_version:
      - 2
      - 0
    .max_flat_workgroup_size: 225
    .name:           fft_rtc_fwd_len3375_factors_5_5_5_3_3_3_wgs_225_tpt_225_halfLds_sp_op_CI_CI_sbrr_dirReg
    .private_segment_fixed_size: 0
    .sgpr_count:     45
    .sgpr_spill_count: 0
    .symbol:         fft_rtc_fwd_len3375_factors_5_5_5_3_3_3_wgs_225_tpt_225_halfLds_sp_op_CI_CI_sbrr_dirReg.kd
    .uniform_work_group_size: 1
    .uses_dynamic_stack: false
    .vgpr_count:     92
    .vgpr_spill_count: 0
    .wavefront_size: 32
    .workgroup_processor_mode: 1
amdhsa.target:   amdgcn-amd-amdhsa--gfx1201
amdhsa.version:
  - 1
  - 2
...

	.end_amdgpu_metadata
